;; amdgpu-corpus repo=ROCm/aiter kind=harvested arch=n/a opt=n/a

/root/src/amdgpu-assembly/repos/ROCm__aiter/hsa/gfx950/f4gemm/f4gemm_bf16_per1x32Fp4_BpreShuffle_32x256.co:	file format elf64-amdgpu

Disassembly of section .text:

0000000000002c00 <_ZN5aiter41f4gemm_bf16_per1x32Fp4_BpreShuffle_32x256E>:
	s_and_b32 s1, s1, 0xffff                                   // 000000002C00: 8601FF01 0000FFFF
	s_load_dwordx2 s[4:5], s[0:1], 0x0                         // 000000002C08: C0060100 00000000
	s_load_dwordx2 s[8:9], s[0:1], 0x10                        // 000000002C10: C0060200 00000010
	s_load_dwordx2 s[12:13], s[0:1], 0x20                      // 000000002C18: C0060300 00000020
	s_load_dwordx2 s[16:17], s[0:1], 0x30                      // 000000002C20: C0060400 00000030
	s_load_dword s41, s[0:1], 0x40                             // 000000002C28: C0020A40 00000040
	s_load_dword s42, s[0:1], 0x50                             // 000000002C30: C0020A80 00000050
	s_load_dword s36, s[0:1], 0x80                             // 000000002C38: C0020900 00000080
	s_load_dword s37, s[0:1], 0xa0                             // 000000002C40: C0020940 000000A0
	s_load_dword s38, s[0:1], 0xc0                             // 000000002C48: C0020980 000000C0
	s_load_dword s43, s[0:1], 0xe0                             // 000000002C50: C0020AC0 000000E0
	s_load_dword s44, s[0:1], 0xf0                             // 000000002C58: C0020B00 000000F0
	s_load_dword s45, s[0:1], 0x100                            // 000000002C60: C0020B40 00000100
	s_load_dwordx2 s[20:21], s[0:1], 0x110                     // 000000002C68: C0060500 00000110
	s_load_dwordx2 s[24:25], s[0:1], 0x120                     // 000000002C70: C0060600 00000120
	s_load_dword s39, s[0:1], 0x130                            // 000000002C78: C00209C0 00000130
	s_load_dword s40, s[0:1], 0x150                            // 000000002C80: C0020A00 00000150
	v_lshrrev_b32_e32 v1, 10, v0                               // 000000002C88: 2002008A
	v_lshrrev_b32_e32 v2, 10, v1                               // 000000002C8C: 2004028A
	v_and_b32_e32 v2, 0x3ff, v2                                // 000000002C90: 260404FF 000003FF
	v_and_b32_e32 v1, 0x3ff, v1                                // 000000002C98: 260202FF 000003FF
	v_and_b32_e32 v0, 0x3ff, v0                                // 000000002CA0: 260000FF 000003FF
	v_lshrrev_b32_e32 v3, 6, v0                                // 000000002CA8: 20060086
	v_and_b32_e32 v0, 63, v0                                   // 000000002CAC: 260000BF
	s_mov_b32 s47, s2                                          // 000000002CB0: BEAF0002
	s_mov_b32 s48, s3                                          // 000000002CB4: BEB00003
	v_readfirstlane_b32 s46, v3                                // 000000002CB8: 7E5C0503
	s_waitcnt lgkmcnt(0)                                       // 000000002CBC: BF8CC07F
	s_add_u32 s51, s44, 0xff                                   // 000000002CC0: 8033FF2C 000000FF
	s_lshr_b32 s50, s51, 8                                     // 000000002CC8: 8F328833
	s_mul_i32 s49, s50, s48                                    // 000000002CCC: 92313032
	s_add_i32 s49, s49, s47                                    // 000000002CD0: 81312F31
	s_add_u32 s51, s43, 31                                     // 000000002CD4: 80339F2B
	s_lshr_b32 s62, s51, 5                                     // 000000002CD8: 8F3E8533
	s_lshl_b32 s62, s62, 5                                     // 000000002CDC: 8E3E853E
	s_mov_b32 s47, 0                                           // 000000002CE0: BEAF0080

0000000000002ce4 <label_0039>:
	s_cmp_lt_i32 s49, s62                                      // 000000002CE4: BF043E31
	s_cbranch_scc1 label_003E                                  // 000000002CE8: BF850003
	s_sub_i32 s49, s49, s62                                    // 000000002CEC: 81B13E31
	s_add_i32 s47, s47, 32                                     // 000000002CF0: 812FA02F
	s_branch label_0039                                        // 000000002CF4: BF82FFFB

0000000000002cf8 <label_003E>:
	s_sub_i32 s50, s50, s47                                    // 000000002CF8: 81B22F32
	s_cmp_lt_i32 s50, 32                                       // 000000002CFC: BF04A032
	s_cbranch_scc1 label_0044                                  // 000000002D00: BF850003
	s_lshr_b32 s48, s49, 5                                     // 000000002D04: 8F308531
	s_and_b32 s62, s49, 31                                     // 000000002D08: 863E9F31
	s_branch label_0064                                        // 000000002D0C: BF820020

0000000000002d10 <label_0044>:
	v_cvt_f32_u32_e32 v4, s50                                  // 000000002D10: 7E080C32
	s_sub_i32 s48, 0, s50                                      // 000000002D14: 81B03280
	v_rcp_iflag_f32_e32 v4, v4                                 // 000000002D18: 7E084704
	s_nop 0                                                    // 000000002D1C: BF800000
	v_mul_f32_e32 v4, 0x4f7ffffe, v4                           // 000000002D20: 0A0808FF 4F7FFFFE
	v_cvt_u32_f32_e32 v4, v4                                   // 000000002D28: 7E080F04
	v_mul_lo_u32 v5, s48, v4                                   // 000000002D2C: D2850005 00020830
	v_mul_hi_u32 v5, v4, v5                                    // 000000002D34: D2860005 00020B04
	v_add_u32_e32 v4, v4, v5                                   // 000000002D3C: 68080B04
	v_mul_hi_u32 v4, s49, v4                                   // 000000002D40: D2860004 00020831
	v_mul_lo_u32 v5, v4, s50                                   // 000000002D48: D2850005 00006504
	v_sub_u32_e32 v7, s49, v5                                  // 000000002D50: 6A0E0A31
	v_add_u32_e32 v6, 1, v4                                    // 000000002D54: 680C0881
	v_cmp_le_u32_e32 vcc, s50, v7                              // 000000002D58: 7D960E32
	v_subrev_u32_e32 v5, s50, v7                               // 000000002D5C: 6C0A0E32
	s_nop 0                                                    // 000000002D60: BF800000
	v_cndmask_b32_e32 v4, v4, v6, vcc                          // 000000002D64: 00080D04
	v_cndmask_b32_e32 v7, v7, v5, vcc                          // 000000002D68: 000E0B07
	v_add_u32_e32 v5, 1, v4                                    // 000000002D6C: 680A0881
	v_cmp_le_u32_e32 vcc, s50, v7                              // 000000002D70: 7D960E32
	s_nop 1                                                    // 000000002D74: BF800001
	v_cndmask_b32_e32 v7, v4, v5, vcc                          // 000000002D78: 000E0B04
	s_nop 3                                                    // 000000002D7C: BF800003
	v_readfirstlane_b32 s48, v7                                // 000000002D80: 7E600507
	s_nop 3                                                    // 000000002D84: BF800003
	s_mul_i32 s62, s50, s48                                    // 000000002D88: 923E3032
	s_sub_i32 s62, s49, s62                                    // 000000002D8C: 81BE3E31

0000000000002d90 <label_0064>:
	s_add_i32 s47, s62, s47                                    // 000000002D90: 812F2F3E
	s_lshr_b32 s37, s37, 1                                     // 000000002D94: 8F258125
	s_mul_i32 s62, s48, 32                                     // 000000002D98: 923EA030
	s_mul_hi_u32 s63, s37, s62                                 // 000000002D9C: 963F3E25
	s_add_u32 s13, s13, s63                                    // 000000002DA0: 800D3F0D
	s_mul_i32 s63, s37, s62                                    // 000000002DA4: 923F3E25
	s_add_u32 s12, s12, s63                                    // 000000002DA8: 800C3F0C
	s_addc_u32 s13, s13, 0                                     // 000000002DAC: 820D800D
	s_sub_i32 s63, s43, s62                                    // 000000002DB0: 81BF3E2B
	s_cmp_lt_u32 s63, 32                                       // 000000002DB4: BF0AA03F
	s_cselect_b32 s62, s63, 32                                 // 000000002DB8: 853EA03F
	s_mul_i32 s14, s37, s62                                    // 000000002DBC: 920E3E25
	s_mov_b32 s15, 0x20000                                     // 000000002DC0: BE8F00FF 00020000
	v_lshrrev_b32_e32 v4, 3, v0                                // 000000002DC8: 20080083
	v_lshrrev_b32_e32 v5, 2, v4                                // 000000002DCC: 200A0882
	v_lshlrev_b32_e32 v5, 4, v5                                // 000000002DD0: 240A0A84
	v_and_b32_e32 v4, 3, v4                                    // 000000002DD4: 26080883
	v_lshrrev_b32_e32 v6, 1, v4                                // 000000002DD8: 200C0881
	v_lshlrev_b32_e32 v6, 2, v6                                // 000000002DDC: 240C0C82
	v_add_u32_e32 v5, v5, v6                                   // 000000002DE0: 680A0D05
	v_and_b32_e32 v4, 1, v4                                    // 000000002DE4: 26080881
	v_add_u32_e32 v5, v5, v4                                   // 000000002DE8: 680A0905
	v_mul_lo_u32 v144, s37, v5                                 // 000000002DEC: D2850090 00020A25
	v_and_b32_e32 v4, 7, v0                                    // 000000002DF4: 26080087
	v_lshlrev_b32_e32 v4, 4, v4                                // 000000002DF8: 24080884
	v_add_u32_e32 v144, v4, v144                               // 000000002DFC: 69212104
	s_lshr_b32 s62, s46, 1                                     // 000000002E00: 8F3E812E
	s_mul_i32 s62, s62, 8                                      // 000000002E04: 923E883E
	s_and_b32 s63, s46, 1                                      // 000000002E08: 863F812E
	s_mul_i32 s63, s63, 2                                      // 000000002E0C: 923F823F
	s_add_u32 s62, s62, s63                                    // 000000002E10: 803E3F3E
	s_mul_i32 s62, s37, s62                                    // 000000002E14: 923E3E25
	v_add_u32_e32 v144, s62, v144                              // 000000002E18: 6921203E
	s_mul_i32 s64, 0x420, s46                                  // 000000002E1C: 92402EFF 00000420
	s_add_u32 s64, 0x1000, s64                                 // 000000002E24: 804040FF 00001000
	v_and_b32_e32 v4, 15, v0                                   // 000000002E2C: 2608008F
	v_lshrrev_b32_e32 v5, 3, v4                                // 000000002E30: 200A0883
	v_mul_i32_i24_e32 v5, 2, v5                                // 000000002E34: 0C0A0A82
	v_and_b32_e32 v4, 3, v0                                    // 000000002E38: 26080083
	v_lshrrev_b32_e32 v6, 1, v4                                // 000000002E3C: 200C0881
	v_add_u32_e32 v4, v5, v6                                   // 000000002E40: 68080D05
	v_mul_i32_i24_e32 v145, 0x420, v4                          // 000000002E44: 0D2208FF 00000420
	v_and_b32_e32 v4, 7, v0                                    // 000000002E4C: 26080087
	v_lshrrev_b32_e32 v5, 2, v4                                // 000000002E50: 200A0882
	v_mul_i32_i24_e32 v5, 0x100, v5                            // 000000002E54: 0C0A0AFF 00000100
	v_add_u32_e32 v145, v5, v145                               // 000000002E5C: 69232305
	v_and_b32_e32 v4, 1, v0                                    // 000000002E60: 26080081
	v_mul_i32_i24_e32 v6, 0x80, v4                             // 000000002E64: 0C0C08FF 00000080
	v_add_u32_e32 v145, v6, v145                               // 000000002E6C: 69232306
	v_lshrrev_b32_e32 v4, 4, v0                                // 000000002E70: 20080084
	v_mul_i32_i24_e32 v4, 16, v4                               // 000000002E74: 0C080890
	v_add_u32_e32 v145, v4, v145                               // 000000002E78: 69232304
	v_add_u32_e32 v145, 0x1000, v145                           // 000000002E7C: 692322FF 00001000
	v_add_u32_e32 v146, 0x1080, v145                           // 000000002E84: 692522FF 00001080
	v_add_u32_e32 v147, 0x1080, v146                           // 000000002E8C: 692724FF 00001080
	v_add_u32_e32 v148, 0x1080, v147                           // 000000002E94: 692926FF 00001080
	s_mul_i32 s62, s48, 32                                     // 000000002E9C: 923EA030
	s_mul_hi_u32 s63, s39, s62                                 // 000000002EA0: 963F3E27
	s_add_u32 s21, s21, s63                                    // 000000002EA4: 80153F15
	s_mul_i32 s63, s39, s62                                    // 000000002EA8: 923F3E27
	s_add_u32 s20, s20, s63                                    // 000000002EAC: 80143F14
	s_addc_u32 s21, s21, 0                                     // 000000002EB0: 82158015
	s_add_u32 s63, s43, 31                                     // 000000002EB4: 803F9F2B
	s_lshr_b32 s63, s63, 5                                     // 000000002EB8: 8F3F853F
	s_lshl_b32 s63, s63, 5                                     // 000000002EBC: 8E3F853F
	s_sub_i32 s63, s63, s62                                    // 000000002EC0: 81BF3E3F
	s_cmp_lt_u32 s63, 32                                       // 000000002EC4: BF0AA03F
	s_cselect_b32 s62, s63, 32                                 // 000000002EC8: 853EA03F
	s_mul_i32 s22, s39, s62                                    // 000000002ECC: 92163E27
	s_mov_b32 s23, 0x20000                                     // 000000002ED0: BE9700FF 00020000
	v_lshlrev_b32_e32 v149, 2, v0                              // 000000002ED8: 252A0082
	s_mul_i32 s63, s46, 32                                     // 000000002EDC: 923FA02E
	s_mul_i32 s63, s63, s39                                    // 000000002EE0: 923F273F
	v_add_u32_e32 v149, s63, v149                              // 000000002EE4: 692B2A3F
	s_mul_i32 s65, s46, 0x100                                  // 000000002EE8: 9241FF2E 00000100
	s_add_i32 s65, s65, 0                                      // 000000002EF0: 81418041
	v_lshlrev_b32_e32 v150, 2, v0                              // 000000002EF4: 252C0082
	v_add_u32_e32 v150, 0, v150                                // 000000002EF8: 692D2C80
	s_lshr_b32 s38, s38, 1                                     // 000000002EFC: 8F268126
	s_mul_i32 s62, s47, 0x100                                  // 000000002F00: 923EFF2F 00000100
	s_mul_hi_u32 s63, s38, s62                                 // 000000002F08: 963F3E26
	s_add_u32 s17, s17, s63                                    // 000000002F0C: 80113F11
	s_mul_i32 s63, s38, s62                                    // 000000002F10: 923F3E26
	s_add_u32 s16, s16, s63                                    // 000000002F14: 80103F10
	s_addc_u32 s17, s17, 0                                     // 000000002F18: 82118011
	s_sub_i32 s63, s44, s62                                    // 000000002F1C: 81BF3E2C
	s_cmp_lt_u32 s63, 0x100                                    // 000000002F20: BF0AFF3F 00000100
	s_cselect_b32 s62, s63, 0x100                              // 000000002F28: 853EFF3F 00000100
	s_mul_i32 s18, s38, s62                                    // 000000002F30: 92123E26
	s_mov_b32 s19, 0x20000                                     // 000000002F34: BE9300FF 00020000
	v_lshlrev_b32_e32 v151, 4, v0                              // 000000002F3C: 252E0084
	s_mul_i32 s63, s46, 64                                     // 000000002F40: 923FC02E
	s_mul_i32 s62, s63, s38                                    // 000000002F44: 923E263F
	v_add_u32_e32 v151, s62, v151                              // 000000002F48: 692F2E3E
	s_mul_i32 s62, 16, s38                                     // 000000002F4C: 923E2690
	v_add_u32_e32 v152, s62, v151                              // 000000002F50: 69312E3E
	v_add_u32_e32 v153, s62, v152                              // 000000002F54: 6933303E
	v_add_u32_e32 v154, s62, v153                              // 000000002F58: 6935323E
	s_mul_i32 s62, s47, 0x100                                  // 000000002F5C: 923EFF2F 00000100
	s_mul_hi_u32 s63, s40, s62                                 // 000000002F64: 963F3E28
	s_add_u32 s25, s25, s63                                    // 000000002F68: 80193F19
	s_mul_i32 s63, s40, s62                                    // 000000002F6C: 923F3E28
	s_add_u32 s24, s24, s63                                    // 000000002F70: 80183F18
	s_addc_u32 s25, s25, 0                                     // 000000002F74: 82198019
	s_sub_i32 s63, s44, s62                                    // 000000002F78: 81BF3E2C
	s_cmp_lt_u32 s63, 0x100                                    // 000000002F7C: BF0AFF3F 00000100
	s_cselect_b32 s62, s63, 0x100                              // 000000002F84: 853EFF3F 00000100
	s_mul_i32 s26, s40, s62                                    // 000000002F8C: 921A3E28
	s_mov_b32 s27, 0x20000                                     // 000000002F90: BE9B00FF 00020000
	v_lshlrev_b32_e32 v155, 2, v0                              // 000000002F98: 25360082
	s_mul_i32 s63, s46, 64                                     // 000000002F9C: 923FC02E
	s_mul_i32 s63, s63, s40                                    // 000000002FA0: 923F283F
	v_add_u32_e32 v155, s63, v155                              // 000000002FA4: 6937363F
	s_mul_i32 s62, 32, s40                                     // 000000002FA8: 923E28A0
	v_add_u32_e32 v156, s62, v155                              // 000000002FAC: 6939363E
	s_mov_b32 s66, 0x80                                        // 000000002FB0: BEC200FF 00000080
	s_mov_b32 s67, 0x800                                       // 000000002FB8: BEC300FF 00000800
	s_mov_b32 s68, 0x100                                       // 000000002FC0: BEC400FF 00000100
	s_mov_b32 s69, 0x100                                       // 000000002FC8: BEC500FF 00000100
	s_mov_b32 s60, 0                                           // 000000002FD0: BEBC0080
	s_mov_b32 s61, s45                                         // 000000002FD4: BEBD002D
	s_add_u32 m0, 0, s65                                       // 000000002FD8: 807C4180
	buffer_load_dword v149, s[20:23], 0 offen lds              // 000000002FDC: E0511000 80050095
	v_accvgpr_write_b32 a0, 0                                  // 000000002FE4: D3D94000 18000080
	v_accvgpr_write_b32 a1, 0                                  // 000000002FEC: D3D94001 18000080
	v_accvgpr_write_b32 a2, 0                                  // 000000002FF4: D3D94002 18000080
	v_accvgpr_write_b32 a3, 0                                  // 000000002FFC: D3D94003 18000080
	v_accvgpr_write_b32 a4, 0                                  // 000000003004: D3D94004 18000080
	v_accvgpr_write_b32 a5, 0                                  // 00000000300C: D3D94005 18000080
	s_add_u32 m0, 0, s64                                       // 000000003014: 807C4080
	buffer_load_dwordx4 v144, s[12:15], 0 offen lds            // 000000003018: E05D1000 80030090
	v_accvgpr_write_b32 a6, 0                                  // 000000003020: D3D94006 18000080
	v_accvgpr_write_b32 a7, 0                                  // 000000003028: D3D94007 18000080
	v_accvgpr_write_b32 a8, 0                                  // 000000003030: D3D94008 18000080
	v_accvgpr_write_b32 a9, 0                                  // 000000003038: D3D94009 18000080
	v_accvgpr_write_b32 a10, 0                                 // 000000003040: D3D9400A 18000080
	v_accvgpr_write_b32 a11, 0                                 // 000000003048: D3D9400B 18000080
	s_add_u32 s62, 0x100, s60                                  // 000000003050: 803E3CFF 00000100
	s_cmp_lt_u32 s62, s61                                      // 000000003058: BF0A3D3E
	s_cselect_b32 s66, s66, 0                                  // 00000000305C: 85428042
	s_cselect_b32 s68, s68, 0                                  // 000000003060: 85448044
	s_add_u32 s12, s12, s66                                    // 000000003064: 800C420C
	s_addc_u32 s13, 0, s13                                     // 000000003068: 820D0D80
	s_sub_u32 s14, s14, s66                                    // 00000000306C: 808E420E
	s_add_u32 s20, s20, s68                                    // 000000003070: 80144414
	s_addc_u32 s21, 0, s21                                     // 000000003074: 82151580
	s_sub_u32 s22, s22, s68                                    // 000000003078: 80964416
	s_add_u32 m0, 0x400, s65                                   // 00000000307C: 807C41FF 00000400
	buffer_load_dword v149, s[20:23], 0 offen lds              // 000000003084: E0511000 80050095
	v_accvgpr_write_b32 a12, 0                                 // 00000000308C: D3D9400C 18000080
	v_accvgpr_write_b32 a13, 0                                 // 000000003094: D3D9400D 18000080
	v_accvgpr_write_b32 a14, 0                                 // 00000000309C: D3D9400E 18000080
	v_accvgpr_write_b32 a15, 0                                 // 0000000030A4: D3D9400F 18000080
	v_accvgpr_write_b32 a16, 0                                 // 0000000030AC: D3D94010 18000080
	v_accvgpr_write_b32 a17, 0                                 // 0000000030B4: D3D94011 18000080
	s_add_u32 m0, 0x1080, s64                                  // 0000000030BC: 807C40FF 00001080
	buffer_load_dwordx4 v144, s[12:15], 0 offen lds            // 0000000030C4: E05D1000 80030090
	v_accvgpr_write_b32 a18, 0                                 // 0000000030CC: D3D94012 18000080
	v_accvgpr_write_b32 a19, 0                                 // 0000000030D4: D3D94013 18000080
	v_accvgpr_write_b32 a20, 0                                 // 0000000030DC: D3D94014 18000080
	v_accvgpr_write_b32 a21, 0                                 // 0000000030E4: D3D94015 18000080
	v_accvgpr_write_b32 a22, 0                                 // 0000000030EC: D3D94016 18000080
	v_accvgpr_write_b32 a23, 0                                 // 0000000030F4: D3D94017 18000080
	buffer_load_dwordx4 v[72:75], v151, s[16:19], 0 offen      // 0000000030FC: E05C1000 80044897
	v_accvgpr_write_b32 a24, 0                                 // 000000003104: D3D94018 18000080
	v_accvgpr_write_b32 a25, 0                                 // 00000000310C: D3D94019 18000080
	v_accvgpr_write_b32 a26, 0                                 // 000000003114: D3D9401A 18000080
	v_accvgpr_write_b32 a27, 0                                 // 00000000311C: D3D9401B 18000080
	v_accvgpr_write_b32 a28, 0                                 // 000000003124: D3D9401C 18000080
	v_accvgpr_write_b32 a29, 0                                 // 00000000312C: D3D9401D 18000080
	buffer_load_dwordx4 v[76:79], v152, s[16:19], 0 offen      // 000000003134: E05C1000 80044C98
	v_accvgpr_write_b32 a30, 0                                 // 00000000313C: D3D9401E 18000080
	v_accvgpr_write_b32 a31, 0                                 // 000000003144: D3D9401F 18000080
	buffer_load_dwordx4 v[80:83], v151, s[16:19], 0 offen offset:1024// 00000000314C: E05C1400 80045097
	buffer_load_dwordx4 v[84:87], v152, s[16:19], 0 offen offset:1024// 000000003154: E05C1400 80045498
	buffer_load_dword v140, v155, s[24:27], 0 offen            // 00000000315C: E0501000 80068C9B
	s_add_u32 s62, 0x200, s60                                  // 000000003164: 803E3CFF 00000200
	s_cmp_lt_u32 s62, s61                                      // 00000000316C: BF0A3D3E
	s_cselect_b32 s66, s66, 0                                  // 000000003170: 85428042
	s_cselect_b32 s68, s68, 0                                  // 000000003174: 85448044
	s_add_u32 s12, s12, s66                                    // 000000003178: 800C420C
	s_addc_u32 s13, 0, s13                                     // 00000000317C: 820D0D80
	s_sub_u32 s14, s14, s66                                    // 000000003180: 808E420E
	s_add_u32 s20, s20, s68                                    // 000000003184: 80144414
	s_addc_u32 s21, 0, s21                                     // 000000003188: 82151580
	s_sub_u32 s22, s22, s68                                    // 00000000318C: 80964416
	buffer_load_dwordx4 v[88:91], v153, s[16:19], 0 offen      // 000000003190: E05C1000 80045899
	buffer_load_dwordx4 v[92:95], v154, s[16:19], 0 offen      // 000000003198: E05C1000 80045C9A
	buffer_load_dwordx4 v[96:99], v153, s[16:19], 0 offen offset:1024// 0000000031A0: E05C1400 80046099
	buffer_load_dwordx4 v[100:103], v154, s[16:19], 0 offen offset:1024// 0000000031A8: E05C1400 8004649A
	buffer_load_dword v141, v156, s[24:27], 0 offen            // 0000000031B0: E0501000 80068D9C
	s_add_u32 s63, 0x100, s60                                  // 0000000031B8: 803F3CFF 00000100
	s_cmp_lt_u32 s63, s61                                      // 0000000031C0: BF0A3D3F
	s_cselect_b32 s67, s67, 0                                  // 0000000031C4: 85438043
	s_cselect_b32 s69, s69, 0                                  // 0000000031C8: 85458045
	s_add_u32 s16, s16, s67                                    // 0000000031CC: 80104310
	s_addc_u32 s17, 0, s17                                     // 0000000031D0: 82111180
	s_sub_u32 s18, s18, s67                                    // 0000000031D4: 80924312
	s_add_u32 s24, s24, s69                                    // 0000000031D8: 80184518
	s_addc_u32 s25, 0, s25                                     // 0000000031DC: 82191980
	s_sub_u32 s26, s26, s69                                    // 0000000031E0: 809A451A
	s_add_u32 m0, 0x800, s65                                   // 0000000031E4: 807C41FF 00000800
	buffer_load_dword v149, s[20:23], 0 offen lds              // 0000000031EC: E0511000 80050095
	s_add_u32 m0, 0x2100, s64                                  // 0000000031F4: 807C40FF 00002100
	buffer_load_dwordx4 v144, s[12:15], 0 offen lds            // 0000000031FC: E05D1000 80030090
	buffer_load_dwordx4 v[104:107], v151, s[16:19], 0 offen    // 000000003204: E05C1000 80046897
	buffer_load_dwordx4 v[108:111], v152, s[16:19], 0 offen    // 00000000320C: E05C1000 80046C98
	buffer_load_dwordx4 v[112:115], v151, s[16:19], 0 offen offset:1024// 000000003214: E05C1400 80047097
	buffer_load_dwordx4 v[116:119], v152, s[16:19], 0 offen offset:1024// 00000000321C: E05C1400 80047498
	buffer_load_dword v142, v155, s[24:27], 0 offen            // 000000003224: E0501000 80068E9B
	s_add_u32 s62, 0x300, s60                                  // 00000000322C: 803E3CFF 00000300
	s_cmp_lt_u32 s62, s61                                      // 000000003234: BF0A3D3E
	s_cselect_b32 s66, s66, 0                                  // 000000003238: 85428042
	s_cselect_b32 s68, s68, 0                                  // 00000000323C: 85448044
	s_add_u32 s12, s12, s66                                    // 000000003240: 800C420C
	s_addc_u32 s13, 0, s13                                     // 000000003244: 820D0D80
	s_sub_u32 s14, s14, s66                                    // 000000003248: 808E420E
	s_add_u32 s20, s20, s68                                    // 00000000324C: 80144414
	s_addc_u32 s21, 0, s21                                     // 000000003250: 82151580
	s_sub_u32 s22, s22, s68                                    // 000000003254: 80964416
	s_waitcnt vmcnt(17)                                        // 000000003258: BF8C4F71
	s_barrier                                                  // 00000000325C: BF8A0000
	ds_read_b128 v[8:11], v145                                 // 000000003260: D9FE0000 08000091
	ds_read_b128 v[16:19], v145 offset:64                      // 000000003268: D9FE0040 10000091
	ds_read_b128 v[12:15], v145 offset:512                     // 000000003270: D9FE0200 0C000091
	ds_read_b128 v[20:23], v145 offset:576                     // 000000003278: D9FE0240 14000091
	ds_read_b32 v136, v150                                     // 000000003280: D86C0000 88000096
	ds_read_b128 v[24:27], v146                                // 000000003288: D9FE0000 18000092
	ds_read_b128 v[32:35], v146 offset:64                      // 000000003290: D9FE0040 20000092
	ds_read_b128 v[28:31], v146 offset:512                     // 000000003298: D9FE0200 1C000092
	ds_read_b128 v[36:39], v146 offset:576                     // 0000000032A0: D9FE0240 24000092
	ds_read_b32 v137, v150 offset:1024                         // 0000000032A8: D86C0400 89000096
	s_nop 0                                                    // 0000000032B0: BF800000
	s_nop 0                                                    // 0000000032B4: BF800000
	s_nop 0                                                    // 0000000032B8: BF800000
	s_nop 0                                                    // 0000000032BC: BF800000
	s_nop 0                                                    // 0000000032C0: BF800000
	s_lshl_b32 s36, s36, 1                                     // 0000000032C4: 8E248124
	s_mul_i32 s62, s48, 32                                     // 0000000032C8: 923EA030
	s_mul_hi_u32 s63, s36, s62                                 // 0000000032CC: 963F3E24
	s_add_u32 s5, s5, s63                                      // 0000000032D0: 80053F05
	s_mul_i32 s63, s36, s62                                    // 0000000032D4: 923F3E24
	s_add_u32 s4, s4, s63                                      // 0000000032D8: 80043F04
	s_addc_u32 s5, s5, 0                                       // 0000000032DC: 82058005
	s_mul_i32 s63, s47, 0x100                                  // 0000000032E0: 923FFF2F 00000100
	s_lshl_b32 s63, s63, 1                                     // 0000000032E8: 8E3F813F
	s_add_u32 s4, s4, s63                                      // 0000000032EC: 80043F04
	s_addc_u32 s5, s5, 0                                       // 0000000032F0: 82058005
	s_sub_i32 s62, s43, s62                                    // 0000000032F4: 81BE3E2B
	s_cmp_lt_u32 s62, 32                                       // 0000000032F8: BF0AA03E
	s_cselect_b32 s62, s62, 32                                 // 0000000032FC: 853EA03E
	s_mul_i32 s62, s36, s62                                    // 000000003300: 923E3E24
	s_sub_i32 s6, s62, s63                                     // 000000003304: 81863F3E
	s_mov_b32 s7, 0x20000                                      // 000000003308: BE8700FF 00020000
	s_mul_i32 s62, s46, 64                                     // 000000003310: 923EC02E
	s_lshl_b32 s62, s62, 1                                     // 000000003314: 8E3E813E
	v_lshrrev_b32_e32 v4, 5, v0                                // 000000003318: 20080085
	v_mul_i32_i24_e32 v4, 16, v4                               // 00000000331C: 0C080890
	v_lshrrev_b32_e32 v5, 4, v0                                // 000000003320: 200A0084
	v_and_b32_e32 v5, 1, v5                                    // 000000003324: 260A0A81
	v_mul_i32_i24_e32 v5, 32, v5                               // 000000003328: 0C0A0AA0
	v_add_u32_e32 v4, v4, v5                                   // 00000000332C: 68080B04
	v_and_b32_e32 v5, 15, v0                                   // 000000003330: 260A008F
	v_mul_lo_u32 v157, s36, v5                                 // 000000003334: D285009D 00020A24
	v_add_u32_e32 v157, s62, v157                              // 00000000333C: 693B3A3E
	v_add_u32_e32 v157, v4, v157                               // 000000003340: 693B3B04
	s_cmp_lt_i32 s46, 2                                        // 000000003344: BF04822E
	s_cbranch_scc0 label_03DA                                  // 000000003348: BF840207

000000000000334c <label_01D3>:
	s_waitcnt vmcnt(12) lgkmcnt(5)                             // 00000000334C: BF8C057C
	v_mfma_scale_f32_16x16x128_f8f6f4 a[0:3], v[72:75], v[8:11], a[0:3], v140, v136 op_sel_hi:[0,0,0] cbsz:4 blgp:4// 000000003350: D3AC6000 0003118C D3AD8C00 84021148
	s_add_u32 s63, 0x200, s60                                  // 000000003360: 803F3CFF 00000200
	s_cmp_lt_u32 s63, s61                                      // 000000003368: BF0A3D3F
	v_mfma_scale_f32_16x16x128_f8f6f4 a[4:7], v[72:75], v[12:15], a[4:7], v140, v136 op_sel_hi:[0,0,0] cbsz:4 blgp:4// 00000000336C: D3AC7000 0003118C D3AD8C04 84121948
	s_cselect_b32 s67, s67, 0                                  // 00000000337C: 85438043
	buffer_load_dwordx4 v[120:123], v153, s[16:19], 0 offen    // 000000003380: E05C1000 80047899
	v_mfma_scale_f32_16x16x128_f8f6f4 a[8:11], v[76:79], v[8:11], a[8:11], v140, v136 op_sel_hi:[0,0,0] cbsz:4 blgp:4// 000000003388: D3AC6800 0003118C D3AD8C08 8422114C
	s_cselect_b32 s69, s69, 0                                  // 000000003398: 85458045
	v_mfma_scale_f32_16x16x128_f8f6f4 a[12:15], v[76:79], v[12:15], a[12:15], v140, v136 op_sel_hi:[0,0,0] cbsz:4 blgp:4// 00000000339C: D3AC1800 0003118C D3AD8C0C 8432194C
	buffer_load_dwordx4 v[124:127], v154, s[16:19], 0 offen    // 0000000033AC: E05C1000 80047C9A
	v_mfma_scale_f32_16x16x128_f8f6f4 a[0:3], v[80:83], v[16:19], a[0:3], v140, v136 op_sel_hi:[0,0,0] cbsz:4 blgp:4// 0000000033B4: D3AC0000 1803118C D3AD8C00 84022150
	v_mfma_scale_f32_16x16x128_f8f6f4 a[4:7], v[80:83], v[20:23], a[4:7], v140, v136 op_sel_hi:[0,0,0] cbsz:4 blgp:4// 0000000033C4: D3AC7000 1803118C D3AD8C04 84122950
	buffer_load_dwordx4 v[128:131], v153, s[16:19], 0 offen offset:1024// 0000000033D4: E05C1400 80048099
	v_mfma_scale_f32_16x16x128_f8f6f4 a[8:11], v[84:87], v[16:19], a[8:11], v140, v136 op_sel_hi:[0,0,0] cbsz:4 blgp:4// 0000000033DC: D3AC6800 1803118C D3AD8C08 84222154
	v_mfma_scale_f32_16x16x128_f8f6f4 a[12:15], v[84:87], v[20:23], a[12:15], v140, v136 op_sel_hi:[0,0,0] cbsz:4 blgp:4// 0000000033EC: D3AC7800 1803118C D3AD8C0C 84322954
	buffer_load_dwordx4 v[132:135], v154, s[16:19], 0 offen offset:1024// 0000000033FC: E05C1400 8004849A
	buffer_load_dword v143, v156, s[24:27], 0 offen            // 000000003404: E0501000 80068F9C
	s_add_u32 s16, s16, s67                                    // 00000000340C: 80104310
	s_addc_u32 s17, 0, s17                                     // 000000003410: 82111180
	s_sub_u32 s18, s18, s67                                    // 000000003414: 80924312
	s_add_u32 s24, s24, s69                                    // 000000003418: 80184518
	s_addc_u32 s25, 0, s25                                     // 00000000341C: 82191980
	s_sub_u32 s26, s26, s69                                    // 000000003420: 809A451A
	s_add_u32 m0, 0xc00, s65                                   // 000000003424: 807C41FF 00000C00
	buffer_load_dword v149, s[20:23], 0 offen lds              // 00000000342C: E0511000 80050095
	s_waitcnt vmcnt(11)                                        // 000000003434: BF8C0F7B
	s_barrier                                                  // 000000003438: BF8A0000
	v_mfma_scale_f32_16x16x128_f8f6f4 a[16:19], v[88:91], v[8:11], a[16:19], v141, v136 op_sel_hi:[0,0,0] cbsz:4 blgp:4// 00000000343C: D3AC6000 0003118D D3AD8C10 84421158
	ds_read_b128 v[40:43], v147                                // 00000000344C: D9FE0000 28000093
	v_mfma_scale_f32_16x16x128_f8f6f4 a[20:23], v[88:91], v[12:15], a[20:23], v141, v136 op_sel_hi:[0,0,0] cbsz:4 blgp:4// 000000003454: D3AC7000 0003118D D3AD8C14 84521958
	s_add_u32 m0, 0x3180, s64                                  // 000000003464: 807C40FF 00003180
	buffer_load_dwordx4 v144, s[12:15], 0 offen lds            // 00000000346C: E05D1000 80030090
	v_mfma_scale_f32_16x16x128_f8f6f4 a[24:27], v[92:95], v[8:11], a[24:27], v141, v136 op_sel_hi:[0,0,0] cbsz:4 blgp:4// 000000003474: D3AC6800 0003118D D3AD8C18 8462115C
	s_add_u32 s62, 0x400, s60                                  // 000000003484: 803E3CFF 00000400
	ds_read_b128 v[48:51], v147 offset:64                      // 00000000348C: D9FE0040 30000093
	v_mfma_scale_f32_16x16x128_f8f6f4 a[28:31], v[92:95], v[12:15], a[28:31], v141, v136 op_sel_hi:[0,0,0] cbsz:4 blgp:4// 000000003494: D3AC7800 0003118D D3AD8C1C 8472195C
	s_cmp_lt_u32 s62, s61                                      // 0000000034A4: BF0A3D3E
	buffer_load_dwordx4 v[72:75], v151, s[16:19], 0 offen      // 0000000034A8: E05C1000 80044897
	v_mfma_scale_f32_16x16x128_f8f6f4 a[16:19], v[96:99], v[16:19], a[16:19], v141, v136 op_sel_hi:[0,0,0] cbsz:4 blgp:4// 0000000034B0: D3AC6000 1803118D D3AD8C10 84422160
	s_cselect_b32 s66, s66, 0                                  // 0000000034C0: 85428042
	ds_read_b128 v[44:47], v147 offset:512                     // 0000000034C4: D9FE0200 2C000093
	v_mfma_scale_f32_16x16x128_f8f6f4 a[20:23], v[96:99], v[20:23], a[20:23], v141, v136 op_sel_hi:[0,0,0] cbsz:4 blgp:4// 0000000034CC: D3AC7000 1803118D D3AD8C14 84522960
	s_cselect_b32 s68, s68, 0                                  // 0000000034DC: 85448044
	buffer_load_dwordx4 v[76:79], v152, s[16:19], 0 offen      // 0000000034E0: E05C1000 80044C98
	v_mfma_scale_f32_16x16x128_f8f6f4 a[24:27], v[100:103], v[16:19], a[24:27], v141, v136 op_sel_hi:[0,0,0] cbsz:4 blgp:4// 0000000034E8: D3AC6800 1803118D D3AD8C18 84622164
	s_add_u32 s12, s12, s66                                    // 0000000034F8: 800C420C
	ds_read_b128 v[52:55], v147 offset:576                     // 0000000034FC: D9FE0240 34000093
	v_mfma_scale_f32_16x16x128_f8f6f4 a[28:31], v[100:103], v[20:23], a[28:31], v141, v136 op_sel_hi:[0,0,0] cbsz:4 blgp:4// 000000003504: D3AC7800 1803118D D3AD8C1C 84722964
	s_addc_u32 s13, 0, s13                                     // 000000003514: 820D0D80
	buffer_load_dwordx4 v[80:83], v151, s[16:19], 0 offen offset:1024// 000000003518: E05C1400 80045097
	ds_read_b32 v138, v150 offset:2048                         // 000000003520: D86C0800 8A000096
	s_sub_u32 s14, s14, s66                                    // 000000003528: 808E420E
	s_add_u32 s20, s20, s68                                    // 00000000352C: 80144414
	buffer_load_dwordx4 v[84:87], v152, s[16:19], 0 offen offset:1024// 000000003530: E05C1400 80045498
	s_addc_u32 s21, 0, s21                                     // 000000003538: 82151580
	s_sub_u32 s22, s22, s68                                    // 00000000353C: 80964416
	buffer_load_dword v140, v155, s[24:27], 0 offen            // 000000003540: E0501000 80068C9B
	s_addk_i32 s60, 0x100                                      // 000000003548: B73C0100
	s_cmp_lt_i32 s60, s61                                      // 00000000354C: BF043D3C
	s_cbranch_scc0 label_05E1                                  // 000000003550: BF84038C
	s_waitcnt vmcnt(12) lgkmcnt(5)                             // 000000003554: BF8C057C
	v_mfma_scale_f32_16x16x128_f8f6f4 a[0:3], v[104:107], v[24:27], a[0:3], v142, v137 op_sel_hi:[0,0,0] cbsz:4 blgp:4// 000000003558: D3AC6000 0003138E D3AD8C00 84023168
	s_add_u32 s63, 0x200, s60                                  // 000000003568: 803F3CFF 00000200
	s_cmp_lt_u32 s63, s61                                      // 000000003570: BF0A3D3F
	v_mfma_scale_f32_16x16x128_f8f6f4 a[4:7], v[104:107], v[28:31], a[4:7], v142, v137 op_sel_hi:[0,0,0] cbsz:4 blgp:4// 000000003574: D3AC7000 0003138E D3AD8C04 84123968
	s_cselect_b32 s67, s67, 0                                  // 000000003584: 85438043
	buffer_load_dwordx4 v[88:91], v153, s[16:19], 0 offen      // 000000003588: E05C1000 80045899
	v_mfma_scale_f32_16x16x128_f8f6f4 a[8:11], v[108:111], v[24:27], a[8:11], v142, v137 op_sel_hi:[0,0,0] cbsz:4 blgp:4// 000000003590: D3AC6800 0003138E D3AD8C08 8422316C
	s_cselect_b32 s69, s69, 0                                  // 0000000035A0: 85458045
	v_mfma_scale_f32_16x16x128_f8f6f4 a[12:15], v[108:111], v[28:31], a[12:15], v142, v137 op_sel_hi:[0,0,0] cbsz:4 blgp:4// 0000000035A4: D3AC7800 0003138E D3AD8C0C 8432396C
	buffer_load_dwordx4 v[92:95], v154, s[16:19], 0 offen      // 0000000035B4: E05C1000 80045C9A
	v_mfma_scale_f32_16x16x128_f8f6f4 a[0:3], v[112:115], v[32:35], a[0:3], v142, v137 op_sel_hi:[0,0,0] cbsz:4 blgp:4// 0000000035BC: D3AC6000 1803138E D3AD8C00 84024170
	v_mfma_scale_f32_16x16x128_f8f6f4 a[4:7], v[112:115], v[36:39], a[4:7], v142, v137 op_sel_hi:[0,0,0] cbsz:4 blgp:4// 0000000035CC: D3AC7000 1803138E D3AD8C04 84124970
	buffer_load_dwordx4 v[96:99], v153, s[16:19], 0 offen offset:1024// 0000000035DC: E05C1400 80046099
	v_mfma_scale_f32_16x16x128_f8f6f4 a[8:11], v[116:119], v[32:35], a[8:11], v142, v137 op_sel_hi:[0,0,0] cbsz:4 blgp:4// 0000000035E4: D3AC6800 1803138E D3AD8C08 84224174
	v_mfma_scale_f32_16x16x128_f8f6f4 a[12:15], v[116:119], v[36:39], a[12:15], v142, v137 op_sel_hi:[0,0,0] cbsz:4 blgp:4// 0000000035F4: D3AC7800 1803138E D3AD8C0C 84324974
	buffer_load_dwordx4 v[100:103], v154, s[16:19], 0 offen offset:1024// 000000003604: E05C1400 8004649A
	buffer_load_dword v141, v156, s[24:27], 0 offen            // 00000000360C: E0501000 80068D9C
	s_add_u32 s16, s16, s67                                    // 000000003614: 80104310
	s_addc_u32 s17, 0, s17                                     // 000000003618: 82111180
	s_sub_u32 s18, s18, s67                                    // 00000000361C: 80924312
	s_add_u32 s24, s24, s69                                    // 000000003620: 80184518
	s_addc_u32 s25, 0, s25                                     // 000000003624: 82191980
	s_sub_u32 s26, s26, s69                                    // 000000003628: 809A451A
	s_add_u32 m0, 0, s65                                       // 00000000362C: 807C4180
	buffer_load_dword v149, s[20:23], 0 offen lds              // 000000003630: E0511000 80050095
	s_waitcnt vmcnt(11)                                        // 000000003638: BF8C0F7B
	s_barrier                                                  // 00000000363C: BF8A0000
	v_mfma_scale_f32_16x16x128_f8f6f4 a[16:19], v[120:123], v[24:27], a[16:19], v143, v137 op_sel_hi:[0,0,0] cbsz:4 blgp:4// 000000003640: D3AC6000 0003138F D3AD8C10 84423178
	ds_read_b128 v[56:59], v148                                // 000000003650: D9FE0000 38000094
	v_mfma_scale_f32_16x16x128_f8f6f4 a[20:23], v[120:123], v[28:31], a[20:23], v143, v137 op_sel_hi:[0,0,0] cbsz:4 blgp:4// 000000003658: D3AC7000 0003138F D3AD8C14 84523978
	s_add_u32 m0, 0, s64                                       // 000000003668: 807C4080
	buffer_load_dwordx4 v144, s[12:15], 0 offen lds            // 00000000366C: E05D1000 80030090
	v_mfma_scale_f32_16x16x128_f8f6f4 a[24:27], v[124:127], v[24:27], a[24:27], v143, v137 op_sel_hi:[0,0,0] cbsz:4 blgp:4// 000000003674: D3AC6800 0003138F D3AD8C18 8462317C
	s_add_u32 s62, 0x400, s60                                  // 000000003684: 803E3CFF 00000400
	ds_read_b128 v[64:67], v148 offset:64                      // 00000000368C: D9FE0040 40000094
	v_mfma_scale_f32_16x16x128_f8f6f4 a[28:31], v[124:127], v[28:31], a[28:31], v143, v137 op_sel_hi:[0,0,0] cbsz:4 blgp:4// 000000003694: D3AC7800 0003138F D3AD8C1C 8472397C
	s_cmp_lt_u32 s62, s61                                      // 0000000036A4: BF0A3D3E
	buffer_load_dwordx4 v[104:107], v151, s[16:19], 0 offen    // 0000000036A8: E05C1000 80046897
	v_mfma_scale_f32_16x16x128_f8f6f4 a[16:19], v[128:131], v[32:35], a[16:19], v143, v137 op_sel_hi:[0,0,0] cbsz:4 blgp:4// 0000000036B0: D3AC6000 1803138F D3AD8C10 84424180
	s_cselect_b32 s66, s66, 0                                  // 0000000036C0: 85428042
	ds_read_b128 v[60:63], v148 offset:512                     // 0000000036C4: D9FE0200 3C000094
	v_mfma_scale_f32_16x16x128_f8f6f4 a[20:23], v[128:131], v[36:39], a[20:23], v143, v137 op_sel_hi:[0,0,0] cbsz:4 blgp:4// 0000000036CC: D3AC7000 1803138F D3AD8C14 84524980
	s_cselect_b32 s68, s68, 0                                  // 0000000036DC: 85448044
	buffer_load_dwordx4 v[108:111], v152, s[16:19], 0 offen    // 0000000036E0: E05C1000 80046C98
	v_mfma_scale_f32_16x16x128_f8f6f4 a[24:27], v[132:135], v[32:35], a[24:27], v143, v137 op_sel_hi:[0,0,0] cbsz:4 blgp:4// 0000000036E8: D3AC6800 1803138F D3AD8C18 84624184
	s_add_u32 s12, s12, s66                                    // 0000000036F8: 800C420C
	ds_read_b128 v[68:71], v148 offset:576                     // 0000000036FC: D9FE0240 44000094
	v_mfma_scale_f32_16x16x128_f8f6f4 a[28:31], v[132:135], v[36:39], a[28:31], v143, v137 op_sel_hi:[0,0,0] cbsz:4 blgp:4// 000000003704: D3AC7800 1803138F D3AD8C1C 84724984
	s_addc_u32 s13, 0, s13                                     // 000000003714: 820D0D80
	buffer_load_dwordx4 v[112:115], v151, s[16:19], 0 offen offset:1024// 000000003718: E05C1400 80047097
	ds_read_b32 v139, v150 offset:3072                         // 000000003720: D86C0C00 8B000096
	s_sub_u32 s14, s14, s66                                    // 000000003728: 808E420E
	s_add_u32 s20, s20, s68                                    // 00000000372C: 80144414
	buffer_load_dwordx4 v[116:119], v152, s[16:19], 0 offen offset:1024// 000000003730: E05C1400 80047498
	s_addc_u32 s21, 0, s21                                     // 000000003738: 82151580
	s_sub_u32 s22, s22, s68                                    // 00000000373C: 80964416
	buffer_load_dword v142, v155, s[24:27], 0 offen            // 000000003740: E0501000 80068E9B
	s_addk_i32 s60, 0x100                                      // 000000003748: B73C0100
	s_cmp_lt_i32 s60, s61                                      // 00000000374C: BF043D3C
	s_cbranch_scc0 label_05E1                                  // 000000003750: BF84030C
	s_waitcnt vmcnt(12) lgkmcnt(5)                             // 000000003754: BF8C057C
	v_mfma_scale_f32_16x16x128_f8f6f4 a[0:3], v[72:75], v[40:43], a[0:3], v140, v138 op_sel_hi:[0,0,0] cbsz:4 blgp:4// 000000003758: D3AC6000 0003158C D3AD8C00 84025148
	s_add_u32 s63, 0x200, s60                                  // 000000003768: 803F3CFF 00000200
	s_cmp_lt_u32 s63, s61                                      // 000000003770: BF0A3D3F
	v_mfma_scale_f32_16x16x128_f8f6f4 a[4:7], v[72:75], v[44:47], a[4:7], v140, v138 op_sel_hi:[0,0,0] cbsz:4 blgp:4// 000000003774: D3AC7000 0003158C D3AD8C04 84125948
	s_cselect_b32 s67, s67, 0                                  // 000000003784: 85438043
	buffer_load_dwordx4 v[120:123], v153, s[16:19], 0 offen    // 000000003788: E05C1000 80047899
	v_mfma_scale_f32_16x16x128_f8f6f4 a[8:11], v[76:79], v[40:43], a[8:11], v140, v138 op_sel_hi:[0,0,0] cbsz:4 blgp:4// 000000003790: D3AC6800 0003158C D3AD8C08 8422514C
	s_cselect_b32 s69, s69, 0                                  // 0000000037A0: 85458045
	v_mfma_scale_f32_16x16x128_f8f6f4 a[12:15], v[76:79], v[44:47], a[12:15], v140, v138 op_sel_hi:[0,0,0] cbsz:4 blgp:4// 0000000037A4: D3AC7800 0003158C D3AD8C0C 8432594C
	buffer_load_dwordx4 v[124:127], v154, s[16:19], 0 offen    // 0000000037B4: E05C1000 80047C9A
	v_mfma_scale_f32_16x16x128_f8f6f4 a[0:3], v[80:83], v[48:51], a[0:3], v140, v138 op_sel_hi:[0,0,0] cbsz:4 blgp:4// 0000000037BC: D3AC6000 1803158C D3AD8C00 84026150
	v_mfma_scale_f32_16x16x128_f8f6f4 a[4:7], v[80:83], v[52:55], a[4:7], v140, v138 op_sel_hi:[0,0,0] cbsz:4 blgp:4// 0000000037CC: D3AC7000 1803158C D3AD8C04 84126950
	buffer_load_dwordx4 v[128:131], v153, s[16:19], 0 offen offset:1024// 0000000037DC: E05C1400 80048099
	v_mfma_scale_f32_16x16x128_f8f6f4 a[8:11], v[84:87], v[48:51], a[8:11], v140, v138 op_sel_hi:[0,0,0] cbsz:4 blgp:4// 0000000037E4: D3AC6800 1803158C D3AD8C08 84226154
	v_mfma_scale_f32_16x16x128_f8f6f4 a[12:15], v[84:87], v[52:55], a[12:15], v140, v138 op_sel_hi:[0,0,0] cbsz:4 blgp:4// 0000000037F4: D3AC7800 1803158C D3AD8C0C 84326954
	buffer_load_dwordx4 v[132:135], v154, s[16:19], 0 offen offset:1024// 000000003804: E05C1400 8004849A
	buffer_load_dword v143, v156, s[24:27], 0 offen            // 00000000380C: E0501000 80068F9C
	s_add_u32 s16, s16, s67                                    // 000000003814: 80104310
	s_addc_u32 s17, 0, s17                                     // 000000003818: 82111180
	s_sub_u32 s18, s18, s67                                    // 00000000381C: 80924312
	s_add_u32 s24, s24, s69                                    // 000000003820: 80184518
	s_addc_u32 s25, 0, s25                                     // 000000003824: 82191980
	s_sub_u32 s26, s26, s69                                    // 000000003828: 809A451A
	s_add_u32 m0, 0x400, s65                                   // 00000000382C: 807C41FF 00000400
	buffer_load_dword v149, s[20:23], 0 offen lds              // 000000003834: E0511000 80050095
	s_waitcnt vmcnt(11)                                        // 00000000383C: BF8C0F7B
	s_barrier                                                  // 000000003840: BF8A0000
	v_mfma_scale_f32_16x16x128_f8f6f4 a[16:19], v[88:91], v[40:43], a[16:19], v141, v138 op_sel_hi:[0,0,0] cbsz:4 blgp:4// 000000003844: D3AC6000 0003158D D3AD8C10 84425158
	ds_read_b128 v[8:11], v145                                 // 000000003854: D9FE0000 08000091
	v_mfma_scale_f32_16x16x128_f8f6f4 a[20:23], v[88:91], v[44:47], a[20:23], v141, v138 op_sel_hi:[0,0,0] cbsz:4 blgp:4// 00000000385C: D3AC7000 0003158D D3AD8C14 84525958
	s_add_u32 m0, 0x1080, s64                                  // 00000000386C: 807C40FF 00001080
	buffer_load_dwordx4 v144, s[12:15], 0 offen lds            // 000000003874: E05D1000 80030090
	v_mfma_scale_f32_16x16x128_f8f6f4 a[24:27], v[92:95], v[40:43], a[24:27], v141, v138 op_sel_hi:[0,0,0] cbsz:4 blgp:4// 00000000387C: D3AC6800 0003158D D3AD8C18 8462515C
	s_add_u32 s62, 0x400, s60                                  // 00000000388C: 803E3CFF 00000400
	ds_read_b128 v[16:19], v145 offset:64                      // 000000003894: D9FE0040 10000091
	v_mfma_scale_f32_16x16x128_f8f6f4 a[28:31], v[92:95], v[44:47], a[28:31], v141, v138 op_sel_hi:[0,0,0] cbsz:4 blgp:4// 00000000389C: D3AC7800 0003158D D3AD8C1C 8472595C
	s_cmp_lt_u32 s62, s61                                      // 0000000038AC: BF0A3D3E
	buffer_load_dwordx4 v[72:75], v151, s[16:19], 0 offen      // 0000000038B0: E05C1000 80044897
	v_mfma_scale_f32_16x16x128_f8f6f4 a[16:19], v[96:99], v[48:51], a[16:19], v141, v138 op_sel_hi:[0,0,0] cbsz:4 blgp:4// 0000000038B8: D3AC6000 1803158D D3AD8C10 84426160
	s_cselect_b32 s66, s66, 0                                  // 0000000038C8: 85428042
	ds_read_b128 v[12:15], v145 offset:512                     // 0000000038CC: D9FE0200 0C000091
	v_mfma_scale_f32_16x16x128_f8f6f4 a[20:23], v[96:99], v[52:55], a[20:23], v141, v138 op_sel_hi:[0,0,0] cbsz:4 blgp:4// 0000000038D4: D3AC7000 1803158D D3AD8C14 84526960
	s_cselect_b32 s68, s68, 0                                  // 0000000038E4: 85448044
	buffer_load_dwordx4 v[76:79], v152, s[16:19], 0 offen      // 0000000038E8: E05C1000 80044C98
	v_mfma_scale_f32_16x16x128_f8f6f4 a[24:27], v[100:103], v[48:51], a[24:27], v141, v138 op_sel_hi:[0,0,0] cbsz:4 blgp:4// 0000000038F0: D3AC6800 1803158D D3AD8C18 84626164
	s_add_u32 s12, s12, s66                                    // 000000003900: 800C420C
	ds_read_b128 v[20:23], v145 offset:576                     // 000000003904: D9FE0240 14000091
	v_mfma_scale_f32_16x16x128_f8f6f4 a[28:31], v[100:103], v[52:55], a[28:31], v141, v138 op_sel_hi:[0,0,0] cbsz:4 blgp:4// 00000000390C: D3AC7800 1803158D D3AD8C1C 84726964
	s_addc_u32 s13, 0, s13                                     // 00000000391C: 820D0D80
	buffer_load_dwordx4 v[80:83], v151, s[16:19], 0 offen offset:1024// 000000003920: E05C1400 80045097
	ds_read_b32 v136, v150                                     // 000000003928: D86C0000 88000096
	s_sub_u32 s14, s14, s66                                    // 000000003930: 808E420E
	s_add_u32 s20, s20, s68                                    // 000000003934: 80144414
	buffer_load_dwordx4 v[84:87], v152, s[16:19], 0 offen offset:1024// 000000003938: E05C1400 80045498
	s_addc_u32 s21, 0, s21                                     // 000000003940: 82151580
	s_sub_u32 s22, s22, s68                                    // 000000003944: 80964416
	buffer_load_dword v140, v155, s[24:27], 0 offen            // 000000003948: E0501000 80068C9B
	s_addk_i32 s60, 0x100                                      // 000000003950: B73C0100
	s_cmp_lt_i32 s60, s61                                      // 000000003954: BF043D3C
	s_cbranch_scc0 label_05E1                                  // 000000003958: BF84028A
	s_waitcnt vmcnt(12) lgkmcnt(5)                             // 00000000395C: BF8C057C
	v_mfma_scale_f32_16x16x128_f8f6f4 a[0:3], v[104:107], v[56:59], a[0:3], v142, v139 op_sel_hi:[0,0,0] cbsz:4 blgp:4// 000000003960: D3AC6000 0003178E D3AD8C00 84027168
	s_add_u32 s63, 0x200, s60                                  // 000000003970: 803F3CFF 00000200
	s_cmp_lt_u32 s63, s61                                      // 000000003978: BF0A3D3F
	v_mfma_scale_f32_16x16x128_f8f6f4 a[4:7], v[104:107], v[60:63], a[4:7], v142, v139 op_sel_hi:[0,0,0] cbsz:4 blgp:4// 00000000397C: D3AC7000 0003178E D3AD8C04 84127968
	s_cselect_b32 s67, s67, 0                                  // 00000000398C: 85438043
	buffer_load_dwordx4 v[88:91], v153, s[16:19], 0 offen      // 000000003990: E05C1000 80045899
	v_mfma_scale_f32_16x16x128_f8f6f4 a[8:11], v[108:111], v[56:59], a[8:11], v142, v139 op_sel_hi:[0,0,0] cbsz:4 blgp:4// 000000003998: D3AC6800 0003178E D3AD8C08 8422716C
	s_cselect_b32 s69, s69, 0                                  // 0000000039A8: 85458045
	v_mfma_scale_f32_16x16x128_f8f6f4 a[12:15], v[108:111], v[60:63], a[12:15], v142, v139 op_sel_hi:[0,0,0] cbsz:4 blgp:4// 0000000039AC: D3AC7800 0003178E D3AD8C0C 8432796C
	buffer_load_dwordx4 v[92:95], v154, s[16:19], 0 offen      // 0000000039BC: E05C1000 80045C9A
	v_mfma_scale_f32_16x16x128_f8f6f4 a[0:3], v[112:115], v[64:67], a[0:3], v142, v139 op_sel_hi:[0,0,0] cbsz:4 blgp:4// 0000000039C4: D3AC6000 1803178E D3AD8C00 84028170
	v_mfma_scale_f32_16x16x128_f8f6f4 a[4:7], v[112:115], v[68:71], a[4:7], v142, v139 op_sel_hi:[0,0,0] cbsz:4 blgp:4// 0000000039D4: D3AC7000 1803178E D3AD8C04 84128970
	buffer_load_dwordx4 v[96:99], v153, s[16:19], 0 offen offset:1024// 0000000039E4: E05C1400 80046099
	v_mfma_scale_f32_16x16x128_f8f6f4 a[8:11], v[116:119], v[64:67], a[8:11], v142, v139 op_sel_hi:[0,0,0] cbsz:4 blgp:4// 0000000039EC: D3AC6800 1803178E D3AD8C08 84228174
	v_mfma_scale_f32_16x16x128_f8f6f4 a[12:15], v[116:119], v[68:71], a[12:15], v142, v139 op_sel_hi:[0,0,0] cbsz:4 blgp:4// 0000000039FC: D3AC7800 1803178E D3AD8C0C 84328974
	buffer_load_dwordx4 v[100:103], v154, s[16:19], 0 offen offset:1024// 000000003A0C: E05C1400 8004649A
	buffer_load_dword v141, v156, s[24:27], 0 offen            // 000000003A14: E0501000 80068D9C
	s_add_u32 s16, s16, s67                                    // 000000003A1C: 80104310
	s_addc_u32 s17, 0, s17                                     // 000000003A20: 82111180
	s_sub_u32 s18, s18, s67                                    // 000000003A24: 80924312
	s_add_u32 s24, s24, s69                                    // 000000003A28: 80184518
	s_addc_u32 s25, 0, s25                                     // 000000003A2C: 82191980
	s_sub_u32 s26, s26, s69                                    // 000000003A30: 809A451A
	s_add_u32 m0, 0x800, s65                                   // 000000003A34: 807C41FF 00000800
	buffer_load_dword v149, s[20:23], 0 offen lds              // 000000003A3C: E0511000 80050095
	s_waitcnt vmcnt(11)                                        // 000000003A44: BF8C0F7B
	s_barrier                                                  // 000000003A48: BF8A0000
	v_mfma_scale_f32_16x16x128_f8f6f4 a[16:19], v[120:123], v[56:59], a[16:19], v143, v139 op_sel_hi:[0,0,0] cbsz:4 blgp:4// 000000003A4C: D3AC6000 0003178F D3AD8C10 84427178
	ds_read_b128 v[24:27], v146                                // 000000003A5C: D9FE0000 18000092
	v_mfma_scale_f32_16x16x128_f8f6f4 a[20:23], v[120:123], v[60:63], a[20:23], v143, v139 op_sel_hi:[0,0,0] cbsz:4 blgp:4// 000000003A64: D3AC7000 0003178F D3AD8C14 84527978
	s_add_u32 m0, 0x2100, s64                                  // 000000003A74: 807C40FF 00002100
	buffer_load_dwordx4 v144, s[12:15], 0 offen lds            // 000000003A7C: E05D1000 80030090
	v_mfma_scale_f32_16x16x128_f8f6f4 a[24:27], v[124:127], v[56:59], a[24:27], v143, v139 op_sel_hi:[0,0,0] cbsz:4 blgp:4// 000000003A84: D3AC6800 0003178F D3AD8C18 8462717C
	s_add_u32 s62, 0x400, s60                                  // 000000003A94: 803E3CFF 00000400
	ds_read_b128 v[32:35], v146 offset:64                      // 000000003A9C: D9FE0040 20000092
	v_mfma_scale_f32_16x16x128_f8f6f4 a[28:31], v[124:127], v[60:63], a[28:31], v143, v139 op_sel_hi:[0,0,0] cbsz:4 blgp:4// 000000003AA4: D3AC7800 0003178F D3AD8C1C 8472797C
	s_cmp_lt_u32 s62, s61                                      // 000000003AB4: BF0A3D3E
	buffer_load_dwordx4 v[104:107], v151, s[16:19], 0 offen    // 000000003AB8: E05C1000 80046897
	v_mfma_scale_f32_16x16x128_f8f6f4 a[16:19], v[128:131], v[64:67], a[16:19], v143, v139 op_sel_hi:[0,0,0] cbsz:4 blgp:4// 000000003AC0: D3AC6000 1803178F D3AD8C10 84428180
	s_cselect_b32 s66, s66, 0                                  // 000000003AD0: 85428042
	ds_read_b128 v[28:31], v146 offset:512                     // 000000003AD4: D9FE0200 1C000092
	v_mfma_scale_f32_16x16x128_f8f6f4 a[20:23], v[128:131], v[68:71], a[20:23], v143, v139 op_sel_hi:[0,0,0] cbsz:4 blgp:4// 000000003ADC: D3AC7000 1803178F D3AD8C14 84528980
	s_cselect_b32 s68, s68, 0                                  // 000000003AEC: 85448044
	buffer_load_dwordx4 v[108:111], v152, s[16:19], 0 offen    // 000000003AF0: E05C1000 80046C98
	v_mfma_scale_f32_16x16x128_f8f6f4 a[24:27], v[132:135], v[64:67], a[24:27], v143, v139 op_sel_hi:[0,0,0] cbsz:4 blgp:4// 000000003AF8: D3AC6800 1803178F D3AD8C18 84628184
	s_add_u32 s12, s12, s66                                    // 000000003B08: 800C420C
	ds_read_b128 v[36:39], v146 offset:576                     // 000000003B0C: D9FE0240 24000092
	v_mfma_scale_f32_16x16x128_f8f6f4 a[28:31], v[132:135], v[68:71], a[28:31], v143, v139 op_sel_hi:[0,0,0] cbsz:4 blgp:4// 000000003B14: D3AC7800 1803178F D3AD8C1C 84728984
	s_addc_u32 s13, 0, s13                                     // 000000003B24: 820D0D80
	buffer_load_dwordx4 v[112:115], v151, s[16:19], 0 offen offset:1024// 000000003B28: E05C1400 80047097
	ds_read_b32 v137, v150 offset:1024                         // 000000003B30: D86C0400 89000096
	s_sub_u32 s14, s14, s66                                    // 000000003B38: 808E420E
	s_add_u32 s20, s20, s68                                    // 000000003B3C: 80144414
	buffer_load_dwordx4 v[116:119], v152, s[16:19], 0 offen offset:1024// 000000003B40: E05C1400 80047498
	s_addc_u32 s21, 0, s21                                     // 000000003B48: 82151580
	s_sub_u32 s22, s22, s68                                    // 000000003B4C: 80964416
	buffer_load_dword v142, v155, s[24:27], 0 offen            // 000000003B50: E0501000 80068E9B
	s_addk_i32 s60, 0x100                                      // 000000003B58: B73C0100
	s_cmp_lt_i32 s60, s61                                      // 000000003B5C: BF043D3C
	s_cbranch_scc0 label_05E1                                  // 000000003B60: BF840208
	s_branch label_01D3                                        // 000000003B64: BF82FDF9

0000000000003b68 <label_03DA>:
	s_waitcnt vmcnt(12) lgkmcnt(5)                             // 000000003B68: BF8C057C
	v_mfma_scale_f32_16x16x128_f8f6f4 a[0:3], v[72:75], v[8:11], a[0:3], v140, v136 op_sel_hi:[0,0,0] cbsz:4 blgp:4// 000000003B6C: D3AC6000 0003118C D3AD8C00 84021148
	s_add_u32 s63, 0x200, s60                                  // 000000003B7C: 803F3CFF 00000200
	buffer_load_dwordx4 v[120:123], v153, s[16:19], 0 offen    // 000000003B84: E05C1000 80047899
	v_mfma_scale_f32_16x16x128_f8f6f4 a[4:7], v[72:75], v[12:15], a[4:7], v140, v136 op_sel_hi:[0,0,0] cbsz:4 blgp:4// 000000003B8C: D3AC5000 0003118C D3AD8C04 84121948
	s_cmp_lt_u32 s63, s61                                      // 000000003B9C: BF0A3D3F
	s_cselect_b32 s67, s67, 0                                  // 000000003BA0: 85438043
	v_mfma_scale_f32_16x16x128_f8f6f4 a[8:11], v[76:79], v[8:11], a[8:11], v140, v136 op_sel_hi:[0,0,0] cbsz:4 blgp:4// 000000003BA4: D3AC6800 0003118C D3AD8C08 8422114C
	s_cselect_b32 s69, s69, 0                                  // 000000003BB4: 85458045
	buffer_load_dwordx4 v[124:127], v154, s[16:19], 0 offen    // 000000003BB8: E05C1000 80047C9A
	v_mfma_scale_f32_16x16x128_f8f6f4 a[12:15], v[76:79], v[12:15], a[12:15], v140, v136 op_sel_hi:[0,0,0] cbsz:4 blgp:4// 000000003BC0: D3AC7800 0003118C D3AD8C0C 8432194C
	v_mfma_scale_f32_16x16x128_f8f6f4 a[0:3], v[80:83], v[16:19], a[0:3], v140, v136 op_sel_hi:[0,0,0] cbsz:4 blgp:4// 000000003BD0: D3AC4000 1803118C D3AD8C00 84022150
	buffer_load_dwordx4 v[128:131], v153, s[16:19], 0 offen offset:1024// 000000003BE0: E05C1400 80048099
	v_mfma_scale_f32_16x16x128_f8f6f4 a[4:7], v[80:83], v[20:23], a[4:7], v140, v136 op_sel_hi:[0,0,0] cbsz:4 blgp:4// 000000003BE8: D3AC7000 1803118C D3AD8C04 84122950
	v_mfma_scale_f32_16x16x128_f8f6f4 a[8:11], v[84:87], v[16:19], a[8:11], v140, v136 op_sel_hi:[0,0,0] cbsz:4 blgp:4// 000000003BF8: D3AC6800 1803118C D3AD8C08 84222154
	buffer_load_dwordx4 v[132:135], v154, s[16:19], 0 offen offset:1024// 000000003C08: E05C1400 8004849A
	v_mfma_scale_f32_16x16x128_f8f6f4 a[12:15], v[84:87], v[20:23], a[12:15], v140, v136 op_sel_hi:[0,0,0] cbsz:4 blgp:4// 000000003C10: D3AC7800 1803118C D3AD8C0C 84322954
	buffer_load_dword v143, v156, s[24:27], 0 offen            // 000000003C20: E0501000 80068F9C
	s_add_u32 s16, s16, s67                                    // 000000003C28: 80104310
	s_addc_u32 s17, 0, s17                                     // 000000003C2C: 82111180
	s_sub_u32 s18, s18, s67                                    // 000000003C30: 80924312
	s_add_u32 s24, s24, s69                                    // 000000003C34: 80184518
	s_addc_u32 s25, 0, s25                                     // 000000003C38: 82191980
	s_sub_u32 s26, s26, s69                                    // 000000003C3C: 809A451A
	s_add_u32 m0, 0xc00, s65                                   // 000000003C40: 807C41FF 00000C00
	buffer_load_dword v149, s[20:23], 0 offen lds              // 000000003C48: E0511000 80050095
	s_waitcnt vmcnt(11)                                        // 000000003C50: BF8C0F7B
	s_barrier                                                  // 000000003C54: BF8A0000
	v_mfma_scale_f32_16x16x128_f8f6f4 a[16:19], v[88:91], v[8:11], a[16:19], v141, v136 op_sel_hi:[0,0,0] cbsz:4 blgp:4// 000000003C58: D3AC6000 0003118D D3AD8C10 84421158
	s_add_u32 m0, 0x3180, s64                                  // 000000003C68: 807C40FF 00003180
	buffer_load_dwordx4 v144, s[12:15], 0 offen lds            // 000000003C70: E05D1000 80030090
	v_mfma_scale_f32_16x16x128_f8f6f4 a[20:23], v[88:91], v[12:15], a[20:23], v141, v136 op_sel_hi:[0,0,0] cbsz:4 blgp:4// 000000003C78: D3AC7000 0003118D D3AD8C14 84521958
	s_add_u32 s62, 0x400, s60                                  // 000000003C88: 803E3CFF 00000400
	ds_read_b128 v[40:43], v147                                // 000000003C90: D9FE0000 28000093
	v_mfma_scale_f32_16x16x128_f8f6f4 a[24:27], v[92:95], v[8:11], a[24:27], v141, v136 op_sel_hi:[0,0,0] cbsz:4 blgp:4// 000000003C98: D3AC6800 0003118D D3AD8C18 8462115C
	s_cmp_lt_u32 s62, s61                                      // 000000003CA8: BF0A3D3E
	buffer_load_dwordx4 v[72:75], v151, s[16:19], 0 offen      // 000000003CAC: E05C1000 80044897
	v_mfma_scale_f32_16x16x128_f8f6f4 a[28:31], v[92:95], v[12:15], a[28:31], v141, v136 op_sel_hi:[0,0,0] cbsz:4 blgp:4// 000000003CB4: D3AC7800 0003118D D3AD8C1C 8472195C
	s_cselect_b32 s66, s66, 0                                  // 000000003CC4: 85428042
	ds_read_b128 v[48:51], v147 offset:64                      // 000000003CC8: D9FE0040 30000093
	v_mfma_scale_f32_16x16x128_f8f6f4 a[16:19], v[96:99], v[16:19], a[16:19], v141, v136 op_sel_hi:[0,0,0] cbsz:4 blgp:4// 000000003CD0: D3AC6000 1803118D D3AD8C10 84422160
	s_cselect_b32 s68, s68, 0                                  // 000000003CE0: 85448044
	buffer_load_dwordx4 v[76:79], v152, s[16:19], 0 offen      // 000000003CE4: E05C1000 80044C98
	v_mfma_scale_f32_16x16x128_f8f6f4 a[20:23], v[96:99], v[20:23], a[20:23], v141, v136 op_sel_hi:[0,0,0] cbsz:4 blgp:4// 000000003CEC: D3AC7000 1803118D D3AD8C14 84522960
	s_add_u32 s12, s12, s66                                    // 000000003CFC: 800C420C
	ds_read_b128 v[44:47], v147 offset:512                     // 000000003D00: D9FE0200 2C000093
	v_mfma_scale_f32_16x16x128_f8f6f4 a[24:27], v[100:103], v[16:19], a[24:27], v141, v136 op_sel_hi:[0,0,0] cbsz:4 blgp:4// 000000003D08: D3AC6800 1803118D D3AD8C18 84622164
	s_addc_u32 s13, 0, s13                                     // 000000003D18: 820D0D80
	buffer_load_dwordx4 v[80:83], v151, s[16:19], 0 offen offset:1024// 000000003D1C: E05C1400 80045097
	v_mfma_scale_f32_16x16x128_f8f6f4 a[28:31], v[100:103], v[20:23], a[28:31], v141, v136 op_sel_hi:[0,0,0] cbsz:4 blgp:4// 000000003D24: D3AC7800 1803118D D3AD8C1C 84722964
	s_sub_u32 s14, s14, s66                                    // 000000003D34: 808E420E
	ds_read_b128 v[52:55], v147 offset:576                     // 000000003D38: D9FE0240 34000093
	ds_read_b32 v138, v150 offset:2048                         // 000000003D40: D86C0800 8A000096
	s_add_u32 s20, s20, s68                                    // 000000003D48: 80144414
	buffer_load_dwordx4 v[84:87], v152, s[16:19], 0 offen offset:1024// 000000003D4C: E05C1400 80045498
	s_addc_u32 s21, 0, s21                                     // 000000003D54: 82151580
	s_sub_u32 s22, s22, s68                                    // 000000003D58: 80964416
	buffer_load_dword v140, v155, s[24:27], 0 offen            // 000000003D5C: E0501000 80068C9B
	s_addk_i32 s60, 0x100                                      // 000000003D64: B73C0100
	s_cmp_lt_i32 s60, s61                                      // 000000003D68: BF043D3C
	s_cbranch_scc0 label_05E1                                  // 000000003D6C: BF840185
	s_waitcnt vmcnt(12) lgkmcnt(5)                             // 000000003D70: BF8C057C
	v_mfma_scale_f32_16x16x128_f8f6f4 a[0:3], v[104:107], v[24:27], a[0:3], v142, v137 op_sel_hi:[0,0,0] cbsz:4 blgp:4// 000000003D74: D3AC6000 0003138E D3AD8C00 84023168
	s_add_u32 s63, 0x200, s60                                  // 000000003D84: 803F3CFF 00000200
	buffer_load_dwordx4 v[88:91], v153, s[16:19], 0 offen      // 000000003D8C: E05C1000 80045899
	v_mfma_scale_f32_16x16x128_f8f6f4 a[4:7], v[104:107], v[28:31], a[4:7], v142, v137 op_sel_hi:[0,0,0] cbsz:4 blgp:4// 000000003D94: D3AC7000 0003138E D3AD8C04 84123968
	s_cmp_lt_u32 s63, s61                                      // 000000003DA4: BF0A3D3F
	s_cselect_b32 s67, s67, 0                                  // 000000003DA8: 85438043
	v_mfma_scale_f32_16x16x128_f8f6f4 a[8:11], v[108:111], v[24:27], a[8:11], v142, v137 op_sel_hi:[0,0,0] cbsz:4 blgp:4// 000000003DAC: D3AC6800 0003138E D3AD8C08 8422316C
	s_cselect_b32 s69, s69, 0                                  // 000000003DBC: 85458045
	buffer_load_dwordx4 v[92:95], v154, s[16:19], 0 offen      // 000000003DC0: E05C1000 80045C9A
	v_mfma_scale_f32_16x16x128_f8f6f4 a[12:15], v[108:111], v[28:31], a[12:15], v142, v137 op_sel_hi:[0,0,0] cbsz:4 blgp:4// 000000003DC8: D3AC7800 0003138E D3AD8C0C 8432396C
	v_mfma_scale_f32_16x16x128_f8f6f4 a[0:3], v[112:115], v[32:35], a[0:3], v142, v137 op_sel_hi:[0,0,0] cbsz:4 blgp:4// 000000003DD8: D3AC4000 1803138E D3AD8C00 84024170
	buffer_load_dwordx4 v[96:99], v153, s[16:19], 0 offen offset:1024// 000000003DE8: E05C1400 80046099
	v_mfma_scale_f32_16x16x128_f8f6f4 a[4:7], v[112:115], v[36:39], a[4:7], v142, v137 op_sel_hi:[0,0,0] cbsz:4 blgp:4// 000000003DF0: D3AC7000 1803138E D3AD8C04 84124970
	v_mfma_scale_f32_16x16x128_f8f6f4 a[8:11], v[116:119], v[32:35], a[8:11], v142, v137 op_sel_hi:[0,0,0] cbsz:4 blgp:4// 000000003E00: D3AC6800 1803138E D3AD8C08 84224174
	buffer_load_dwordx4 v[100:103], v154, s[16:19], 0 offen offset:1024// 000000003E10: E05C1400 8004649A
	v_mfma_scale_f32_16x16x128_f8f6f4 a[12:15], v[116:119], v[36:39], a[12:15], v142, v137 op_sel_hi:[0,0,0] cbsz:4 blgp:4// 000000003E18: D3AC7800 1803138E D3AD8C0C 84324974
	buffer_load_dword v141, v156, s[24:27], 0 offen            // 000000003E28: E0501000 80068D9C
	s_add_u32 s16, s16, s67                                    // 000000003E30: 80104310
	s_addc_u32 s17, 0, s17                                     // 000000003E34: 82111180
	s_sub_u32 s18, s18, s67                                    // 000000003E38: 80924312
	s_add_u32 s24, s24, s69                                    // 000000003E3C: 80184518
	s_addc_u32 s25, 0, s25                                     // 000000003E40: 82191980
	s_sub_u32 s26, s26, s69                                    // 000000003E44: 809A451A
	s_add_u32 m0, 0, s65                                       // 000000003E48: 807C4180
	buffer_load_dword v149, s[20:23], 0 offen lds              // 000000003E4C: E0511000 80050095
	s_waitcnt vmcnt(11)                                        // 000000003E54: BF8C0F7B
	s_barrier                                                  // 000000003E58: BF8A0000
	v_mfma_scale_f32_16x16x128_f8f6f4 a[16:19], v[120:123], v[24:27], a[16:19], v143, v137 op_sel_hi:[0,0,0] cbsz:4 blgp:4// 000000003E5C: D3AC6000 0003138F D3AD8C10 84423178
	s_add_u32 m0, 0, s64                                       // 000000003E6C: 807C4080
	buffer_load_dwordx4 v144, s[12:15], 0 offen lds            // 000000003E70: E05D1000 80030090
	v_mfma_scale_f32_16x16x128_f8f6f4 a[20:23], v[120:123], v[28:31], a[20:23], v143, v137 op_sel_hi:[0,0,0] cbsz:4 blgp:4// 000000003E78: D3AC7000 0003138F D3AD8C14 84523978
	s_add_u32 s62, 0x400, s60                                  // 000000003E88: 803E3CFF 00000400
	ds_read_b128 v[56:59], v148                                // 000000003E90: D9FE0000 38000094
	v_mfma_scale_f32_16x16x128_f8f6f4 a[24:27], v[124:127], v[24:27], a[24:27], v143, v137 op_sel_hi:[0,0,0] cbsz:4 blgp:4// 000000003E98: D3AC6800 0003138F D3AD8C18 8462317C
	s_cmp_lt_u32 s62, s61                                      // 000000003EA8: BF0A3D3E
	buffer_load_dwordx4 v[104:107], v151, s[16:19], 0 offen    // 000000003EAC: E05C1000 80046897
	v_mfma_scale_f32_16x16x128_f8f6f4 a[28:31], v[124:127], v[28:31], a[28:31], v143, v137 op_sel_hi:[0,0,0] cbsz:4 blgp:4// 000000003EB4: D3AC7800 0003138F D3AD8C1C 8472397C
	s_cselect_b32 s66, s66, 0                                  // 000000003EC4: 85428042
	ds_read_b128 v[64:67], v148 offset:64                      // 000000003EC8: D9FE0040 40000094
	v_mfma_scale_f32_16x16x128_f8f6f4 a[16:19], v[128:131], v[32:35], a[16:19], v143, v137 op_sel_hi:[0,0,0] cbsz:4 blgp:4// 000000003ED0: D3AC6000 1803138F D3AD8C10 84424180
	s_cselect_b32 s68, s68, 0                                  // 000000003EE0: 85448044
	buffer_load_dwordx4 v[108:111], v152, s[16:19], 0 offen    // 000000003EE4: E05C1000 80046C98
	v_mfma_scale_f32_16x16x128_f8f6f4 a[20:23], v[128:131], v[36:39], a[20:23], v143, v137 op_sel_hi:[0,0,0] cbsz:4 blgp:4// 000000003EEC: D3AC7000 1803138F D3AD8C14 84524980
	s_add_u32 s12, s12, s66                                    // 000000003EFC: 800C420C
	ds_read_b128 v[60:63], v148 offset:512                     // 000000003F00: D9FE0200 3C000094
	v_mfma_scale_f32_16x16x128_f8f6f4 a[24:27], v[132:135], v[32:35], a[24:27], v143, v137 op_sel_hi:[0,0,0] cbsz:4 blgp:4// 000000003F08: D3AC6800 1803138F D3AD8C18 84624184
	s_addc_u32 s13, 0, s13                                     // 000000003F18: 820D0D80
	buffer_load_dwordx4 v[112:115], v151, s[16:19], 0 offen offset:1024// 000000003F1C: E05C1400 80047097
	v_mfma_scale_f32_16x16x128_f8f6f4 a[28:31], v[132:135], v[36:39], a[28:31], v143, v137 op_sel_hi:[0,0,0] cbsz:4 blgp:4// 000000003F24: D3AC7800 1803138F D3AD8C1C 84724984
	s_sub_u32 s14, s14, s66                                    // 000000003F34: 808E420E
	ds_read_b128 v[68:71], v148 offset:576                     // 000000003F38: D9FE0240 44000094
	ds_read_b32 v139, v150 offset:3072                         // 000000003F40: D86C0C00 8B000096
	s_add_u32 s20, s20, s68                                    // 000000003F48: 80144414
	buffer_load_dwordx4 v[116:119], v152, s[16:19], 0 offen offset:1024// 000000003F4C: E05C1400 80047498
	s_addc_u32 s21, 0, s21                                     // 000000003F54: 82151580
	s_sub_u32 s22, s22, s68                                    // 000000003F58: 80964416
	buffer_load_dword v142, v155, s[24:27], 0 offen            // 000000003F5C: E0501000 80068E9B
	s_addk_i32 s60, 0x100                                      // 000000003F64: B73C0100
	s_cmp_lt_i32 s60, s61                                      // 000000003F68: BF043D3C
	s_cbranch_scc0 label_05E1                                  // 000000003F6C: BF840105
	s_waitcnt vmcnt(12) lgkmcnt(5)                             // 000000003F70: BF8C057C
	v_mfma_scale_f32_16x16x128_f8f6f4 a[0:3], v[72:75], v[40:43], a[0:3], v140, v138 op_sel_hi:[0,0,0] cbsz:4 blgp:4// 000000003F74: D3AC6000 0003158C D3AD8C00 84025148
	s_add_u32 s63, 0x200, s60                                  // 000000003F84: 803F3CFF 00000200
	buffer_load_dwordx4 v[120:123], v153, s[16:19], 0 offen    // 000000003F8C: E05C1000 80047899
	v_mfma_scale_f32_16x16x128_f8f6f4 a[4:7], v[72:75], v[44:47], a[4:7], v140, v138 op_sel_hi:[0,0,0] cbsz:4 blgp:4// 000000003F94: D3AC7000 0003158C D3AD8C04 84125948
	s_cmp_lt_u32 s63, s61                                      // 000000003FA4: BF0A3D3F
	s_cselect_b32 s67, s67, 0                                  // 000000003FA8: 85438043
	v_mfma_scale_f32_16x16x128_f8f6f4 a[8:11], v[76:79], v[40:43], a[8:11], v140, v138 op_sel_hi:[0,0,0] cbsz:4 blgp:4// 000000003FAC: D3AC6800 0003158C D3AD8C08 8422514C
	s_cselect_b32 s69, s69, 0                                  // 000000003FBC: 85458045
	buffer_load_dwordx4 v[124:127], v154, s[16:19], 0 offen    // 000000003FC0: E05C1000 80047C9A
	v_mfma_scale_f32_16x16x128_f8f6f4 a[12:15], v[76:79], v[44:47], a[12:15], v140, v138 op_sel_hi:[0,0,0] cbsz:4 blgp:4// 000000003FC8: D3AC7800 0003158C D3AD8C0C 8432594C
	v_mfma_scale_f32_16x16x128_f8f6f4 a[0:3], v[80:83], v[48:51], a[0:3], v140, v138 op_sel_hi:[0,0,0] cbsz:4 blgp:4// 000000003FD8: D3AC6000 1803158C D3AD8C00 84026150
	buffer_load_dwordx4 v[128:131], v153, s[16:19], 0 offen offset:1024// 000000003FE8: E05C1400 80048099
	v_mfma_scale_f32_16x16x128_f8f6f4 a[4:7], v[80:83], v[52:55], a[4:7], v140, v138 op_sel_hi:[0,0,0] cbsz:4 blgp:4// 000000003FF0: D3AC7000 1803158C D3AD8C04 84126950
	v_mfma_scale_f32_16x16x128_f8f6f4 a[8:11], v[84:87], v[48:51], a[8:11], v140, v138 op_sel_hi:[0,0,0] cbsz:4 blgp:4// 000000004000: D3AC6800 1803158C D3AD8C08 84226154
	buffer_load_dwordx4 v[132:135], v154, s[16:19], 0 offen offset:1024// 000000004010: E05C1400 8004849A
	v_mfma_scale_f32_16x16x128_f8f6f4 a[12:15], v[84:87], v[52:55], a[12:15], v140, v138 op_sel_hi:[0,0,0] cbsz:4 blgp:4// 000000004018: D3AC7800 1803158C D3AD8C0C 84326954
	buffer_load_dword v143, v156, s[24:27], 0 offen            // 000000004028: E0501000 80068F9C
	s_add_u32 s16, s16, s67                                    // 000000004030: 80104310
	s_addc_u32 s17, 0, s17                                     // 000000004034: 82111180
	s_sub_u32 s18, s18, s67                                    // 000000004038: 80924312
	s_add_u32 s24, s24, s69                                    // 00000000403C: 80184518
	s_addc_u32 s25, 0, s25                                     // 000000004040: 82191980
	s_sub_u32 s26, s26, s69                                    // 000000004044: 809A451A
	s_add_u32 m0, 0x400, s65                                   // 000000004048: 807C41FF 00000400
	buffer_load_dword v149, s[20:23], 0 offen lds              // 000000004050: E0511000 80050095
	s_waitcnt vmcnt(11)                                        // 000000004058: BF8C0F7B
	s_barrier                                                  // 00000000405C: BF8A0000
	v_mfma_scale_f32_16x16x128_f8f6f4 a[16:19], v[88:91], v[40:43], a[16:19], v141, v138 op_sel_hi:[0,0,0] cbsz:4 blgp:4// 000000004060: D3AC6000 0003158D D3AD8C10 84425158
	s_add_u32 m0, 0x1080, s64                                  // 000000004070: 807C40FF 00001080
	buffer_load_dwordx4 v144, s[12:15], 0 offen lds            // 000000004078: E05D1000 80030090
	v_mfma_scale_f32_16x16x128_f8f6f4 a[20:23], v[88:91], v[44:47], a[20:23], v141, v138 op_sel_hi:[0,0,0] cbsz:4 blgp:4// 000000004080: D3AC7000 0003158D D3AD8C14 84525958
	s_add_u32 s62, 0x400, s60                                  // 000000004090: 803E3CFF 00000400
	ds_read_b128 v[8:11], v145                                 // 000000004098: D9FE0000 08000091
	v_mfma_scale_f32_16x16x128_f8f6f4 a[24:27], v[92:95], v[40:43], a[24:27], v141, v138 op_sel_hi:[0,0,0] cbsz:4 blgp:4// 0000000040A0: D3AC6800 0003158D D3AD8C18 8462515C
	s_cmp_lt_u32 s62, s61                                      // 0000000040B0: BF0A3D3E
	buffer_load_dwordx4 v[72:75], v151, s[16:19], 0 offen      // 0000000040B4: E05C1000 80044897
	v_mfma_scale_f32_16x16x128_f8f6f4 a[28:31], v[92:95], v[44:47], a[28:31], v141, v138 op_sel_hi:[0,0,0] cbsz:4 blgp:4// 0000000040BC: D3AC7800 0003158D D3AD8C1C 8472595C
	s_cselect_b32 s66, s66, 0                                  // 0000000040CC: 85428042
	ds_read_b128 v[16:19], v145 offset:64                      // 0000000040D0: D9FE0040 10000091
	v_mfma_scale_f32_16x16x128_f8f6f4 a[16:19], v[96:99], v[48:51], a[16:19], v141, v138 op_sel_hi:[0,0,0] cbsz:4 blgp:4// 0000000040D8: D3AC6000 1803158D D3AD8C10 84426160
	s_cselect_b32 s68, s68, 0                                  // 0000000040E8: 85448044
	buffer_load_dwordx4 v[76:79], v152, s[16:19], 0 offen      // 0000000040EC: E05C1000 80044C98
	v_mfma_scale_f32_16x16x128_f8f6f4 a[20:23], v[96:99], v[52:55], a[20:23], v141, v138 op_sel_hi:[0,0,0] cbsz:4 blgp:4// 0000000040F4: D3AC7000 1803158D D3AD8C14 84526960
	s_add_u32 s12, s12, s66                                    // 000000004104: 800C420C
	ds_read_b128 v[12:15], v145 offset:512                     // 000000004108: D9FE0200 0C000091
	v_mfma_scale_f32_16x16x128_f8f6f4 a[24:27], v[100:103], v[48:51], a[24:27], v141, v138 op_sel_hi:[0,0,0] cbsz:4 blgp:4// 000000004110: D3AC6800 1803158D D3AD8C18 84626164
	s_addc_u32 s13, 0, s13                                     // 000000004120: 820D0D80
	buffer_load_dwordx4 v[80:83], v151, s[16:19], 0 offen offset:1024// 000000004124: E05C1400 80045097
	v_mfma_scale_f32_16x16x128_f8f6f4 a[28:31], v[100:103], v[52:55], a[28:31], v141, v138 op_sel_hi:[0,0,0] cbsz:4 blgp:4// 00000000412C: D3AC7800 1803158D D3AD8C1C 84726964
	s_sub_u32 s14, s14, s66                                    // 00000000413C: 808E420E
	ds_read_b128 v[20:23], v145 offset:576                     // 000000004140: D9FE0240 14000091
	ds_read_b32 v136, v150                                     // 000000004148: D86C0000 88000096
	s_add_u32 s20, s20, s68                                    // 000000004150: 80144414
	buffer_load_dwordx4 v[84:87], v152, s[16:19], 0 offen offset:1024// 000000004154: E05C1400 80045498
	s_addc_u32 s21, 0, s21                                     // 00000000415C: 82151580
	s_sub_u32 s22, s22, s68                                    // 000000004160: 80964416
	buffer_load_dword v140, v155, s[24:27], 0 offen            // 000000004164: E0501000 80068C9B
	s_addk_i32 s60, 0x100                                      // 00000000416C: B73C0100
	s_cmp_lt_i32 s60, s61                                      // 000000004170: BF043D3C
	s_cbranch_scc0 label_05E1                                  // 000000004174: BF840083
	s_waitcnt vmcnt(12) lgkmcnt(5)                             // 000000004178: BF8C057C
	v_mfma_scale_f32_16x16x128_f8f6f4 a[0:3], v[104:107], v[56:59], a[0:3], v142, v139 op_sel_hi:[0,0,0] cbsz:4 blgp:4// 00000000417C: D3AC6000 0003178E D3AD8C00 84027168
	s_add_u32 s63, 0x200, s60                                  // 00000000418C: 803F3CFF 00000200
	buffer_load_dwordx4 v[88:91], v153, s[16:19], 0 offen      // 000000004194: E05C1000 80045899
	v_mfma_scale_f32_16x16x128_f8f6f4 a[4:7], v[104:107], v[60:63], a[4:7], v142, v139 op_sel_hi:[0,0,0] cbsz:4 blgp:4// 00000000419C: D3AC7000 0003178E D3AD8C04 84127968
	s_cmp_lt_u32 s63, s61                                      // 0000000041AC: BF0A3D3F
	s_cselect_b32 s67, s67, 0                                  // 0000000041B0: 85438043
	v_mfma_scale_f32_16x16x128_f8f6f4 a[8:11], v[108:111], v[56:59], a[8:11], v142, v139 op_sel_hi:[0,0,0] cbsz:4 blgp:4// 0000000041B4: D3AC6800 0003178E D3AD8C08 8422716C
	s_cselect_b32 s69, s69, 0                                  // 0000000041C4: 85458045
	buffer_load_dwordx4 v[92:95], v154, s[16:19], 0 offen      // 0000000041C8: E05C1000 80045C9A
	v_mfma_scale_f32_16x16x128_f8f6f4 a[12:15], v[108:111], v[60:63], a[12:15], v142, v139 op_sel_hi:[0,0,0] cbsz:4 blgp:4// 0000000041D0: D3AC7800 0003178E D3AD8C0C 8432796C
	v_mfma_scale_f32_16x16x128_f8f6f4 a[0:3], v[112:115], v[64:67], a[0:3], v142, v139 op_sel_hi:[0,0,0] cbsz:4 blgp:4// 0000000041E0: D3AC6000 1803178E D3AD8C00 84028170
	buffer_load_dwordx4 v[96:99], v153, s[16:19], 0 offen offset:1024// 0000000041F0: E05C1400 80046099
	v_mfma_scale_f32_16x16x128_f8f6f4 a[4:7], v[112:115], v[68:71], a[4:7], v142, v139 op_sel_hi:[0,0,0] cbsz:4 blgp:4// 0000000041F8: D3AC7000 1803178E D3AD8C04 84128970
	v_mfma_scale_f32_16x16x128_f8f6f4 a[8:11], v[116:119], v[64:67], a[8:11], v142, v139 op_sel_hi:[0,0,0] cbsz:4 blgp:4// 000000004208: D3AC6800 1803178E D3AD8C08 84228174
	buffer_load_dwordx4 v[100:103], v154, s[16:19], 0 offen offset:1024// 000000004218: E05C1400 8004649A
	v_mfma_scale_f32_16x16x128_f8f6f4 a[12:15], v[116:119], v[68:71], a[12:15], v142, v139 op_sel_hi:[0,0,0] cbsz:4 blgp:4// 000000004220: D3AC7800 1803178E D3AD8C0C 84328974
	buffer_load_dword v141, v156, s[24:27], 0 offen            // 000000004230: E0501000 80068D9C
	s_add_u32 s16, s16, s67                                    // 000000004238: 80104310
	s_addc_u32 s17, 0, s17                                     // 00000000423C: 82111180
	s_sub_u32 s18, s18, s67                                    // 000000004240: 80924312
	s_add_u32 s24, s24, s69                                    // 000000004244: 80184518
	s_addc_u32 s25, 0, s25                                     // 000000004248: 82191980
	s_sub_u32 s26, s26, s69                                    // 00000000424C: 809A451A
	s_add_u32 m0, 0x800, s65                                   // 000000004250: 807C41FF 00000800
	buffer_load_dword v149, s[20:23], 0 offen lds              // 000000004258: E0511000 80050095
	s_waitcnt vmcnt(11)                                        // 000000004260: BF8C0F7B
	s_barrier                                                  // 000000004264: BF8A0000
	v_mfma_scale_f32_16x16x128_f8f6f4 a[16:19], v[120:123], v[56:59], a[16:19], v143, v139 op_sel_hi:[0,0,0] cbsz:4 blgp:4// 000000004268: D3AC6000 0003178F D3AD8C10 84427178
	s_add_u32 m0, 0x2100, s64                                  // 000000004278: 807C40FF 00002100
	buffer_load_dwordx4 v144, s[12:15], 0 offen lds            // 000000004280: E05D1000 80030090
	v_mfma_scale_f32_16x16x128_f8f6f4 a[20:23], v[120:123], v[60:63], a[20:23], v143, v139 op_sel_hi:[0,0,0] cbsz:4 blgp:4// 000000004288: D3AC7000 0003178F D3AD8C14 84527978
	s_add_u32 s62, 0x400, s60                                  // 000000004298: 803E3CFF 00000400
	ds_read_b128 v[24:27], v146                                // 0000000042A0: D9FE0000 18000092
	v_mfma_scale_f32_16x16x128_f8f6f4 a[24:27], v[124:127], v[56:59], a[24:27], v143, v139 op_sel_hi:[0,0,0] cbsz:4 blgp:4// 0000000042A8: D3AC6800 0003178F D3AD8C18 8462717C
	s_cmp_lt_u32 s62, s61                                      // 0000000042B8: BF0A3D3E
	buffer_load_dwordx4 v[104:107], v151, s[16:19], 0 offen    // 0000000042BC: E05C1000 80046897
	v_mfma_scale_f32_16x16x128_f8f6f4 a[28:31], v[124:127], v[60:63], a[28:31], v143, v139 op_sel_hi:[0,0,0] cbsz:4 blgp:4// 0000000042C4: D3AC7800 0003178F D3AD8C1C 8472797C
	s_cselect_b32 s66, s66, 0                                  // 0000000042D4: 85428042
	ds_read_b128 v[32:35], v146 offset:64                      // 0000000042D8: D9FE0040 20000092
	v_mfma_scale_f32_16x16x128_f8f6f4 a[16:19], v[128:131], v[64:67], a[16:19], v143, v139 op_sel_hi:[0,0,0] cbsz:4 blgp:4// 0000000042E0: D3AC6000 1803178F D3AD8C10 84428180
	s_cselect_b32 s68, s68, 0                                  // 0000000042F0: 85448044
	buffer_load_dwordx4 v[108:111], v152, s[16:19], 0 offen    // 0000000042F4: E05C1000 80046C98
	v_mfma_scale_f32_16x16x128_f8f6f4 a[20:23], v[128:131], v[68:71], a[20:23], v143, v139 op_sel_hi:[0,0,0] cbsz:4 blgp:4// 0000000042FC: D3AC7000 1803178F D3AD8C14 84528980
	s_add_u32 s12, s12, s66                                    // 00000000430C: 800C420C
	ds_read_b128 v[28:31], v146 offset:512                     // 000000004310: D9FE0200 1C000092
	v_mfma_scale_f32_16x16x128_f8f6f4 a[24:27], v[132:135], v[64:67], a[24:27], v143, v139 op_sel_hi:[0,0,0] cbsz:4 blgp:4// 000000004318: D3AC6800 1803178F D3AD8C18 84628184
	s_addc_u32 s13, 0, s13                                     // 000000004328: 820D0D80
	buffer_load_dwordx4 v[112:115], v151, s[16:19], 0 offen offset:1024// 00000000432C: E05C1400 80047097
	v_mfma_scale_f32_16x16x128_f8f6f4 a[28:31], v[132:135], v[68:71], a[28:31], v143, v139 op_sel_hi:[0,0,0] cbsz:4 blgp:4// 000000004334: D3AC7800 1803178F D3AD8C1C 84728984
	s_sub_u32 s14, s14, s66                                    // 000000004344: 808E420E
	ds_read_b128 v[36:39], v146 offset:576                     // 000000004348: D9FE0240 24000092
	ds_read_b32 v137, v150 offset:1024                         // 000000004350: D86C0400 89000096
	s_add_u32 s20, s20, s68                                    // 000000004358: 80144414
	buffer_load_dwordx4 v[116:119], v152, s[16:19], 0 offen offset:1024// 00000000435C: E05C1400 80047498
	s_addc_u32 s21, 0, s21                                     // 000000004364: 82151580
	s_sub_u32 s22, s22, s68                                    // 000000004368: 80964416
	buffer_load_dword v142, v155, s[24:27], 0 offen            // 00000000436C: E0501000 80068E9B
	s_addk_i32 s60, 0x100                                      // 000000004374: B73C0100
	s_cmp_lt_i32 s60, s61                                      // 000000004378: BF043D3C
	s_cbranch_scc0 label_05E1                                  // 00000000437C: BF840001
	s_branch label_03DA                                        // 000000004380: BF82FDF9

0000000000004384 <label_05E1>:
	s_waitcnt lgkmcnt(0)                                       // 000000004384: BF8CC07F
	s_mul_i32 s62, s47, 0x100                                  // 000000004388: 923EFF2F 00000100
	s_mul_i32 s63, s46, 64                                     // 000000004390: 923FC02E
	s_add_u32 s60, s62, s63                                    // 000000004394: 803C3F3E
	s_add_u32 s62, s60, 64                                     // 000000004398: 803EC03C
	s_cmp_lt_i32 s44, s62                                      // 00000000439C: BF043E2C
	s_cbranch_scc1 label_066D                                  // 0000000043A0: BF850084
	s_mul_i32 s62, s36, 16                                     // 0000000043A4: 923E9024
	v_add_u32_e32 v161, 0, v157                                // 0000000043A8: 69433A80
	v_accvgpr_read_b32 v8, a0                                  // 0000000043AC: D3D84008 18000100
	v_accvgpr_read_b32 v9, a1                                  // 0000000043B4: D3D84009 18000101
	v_accvgpr_read_b32 v10, a2                                 // 0000000043BC: D3D8400A 18000102
	v_accvgpr_read_b32 v11, a3                                 // 0000000043C4: D3D8400B 18000103
	v_accvgpr_read_b32 v12, a8                                 // 0000000043CC: D3D8400C 18000108
	v_accvgpr_read_b32 v13, a9                                 // 0000000043D4: D3D8400D 18000109
	v_accvgpr_read_b32 v14, a10                                // 0000000043DC: D3D8400E 1800010A
	v_accvgpr_read_b32 v15, a11                                // 0000000043E4: D3D8400F 1800010B
	v_cvt_pk_bf16_f32 v16, v8, v9                              // 0000000043EC: D2680010 00021308
	v_cvt_pk_bf16_f32 v17, v10, v11                            // 0000000043F4: D2680011 0002170A
	v_cvt_pk_bf16_f32 v18, v12, v13                            // 0000000043FC: D2680012 00021B0C
	v_cvt_pk_bf16_f32 v19, v14, v15                            // 000000004404: D2680013 00021F0E
	s_nop 1                                                    // 00000000440C: BF800001
	v_permlane16_swap_b32_e32 v16, v18                         // 000000004410: 7E20B312
	s_nop 1                                                    // 000000004414: BF800001
	v_permlane16_swap_b32_e32 v17, v19                         // 000000004418: 7E22B313
	s_nop 1                                                    // 00000000441C: BF800001
	buffer_store_dwordx4 v[16:19], v161, s[4:7], 0 offen       // 000000004420: E07C1000 800110A1
	v_add_u32_e32 v161, s62, v161                              // 000000004428: 6943423E
	v_accvgpr_read_b32 v8, a4                                  // 00000000442C: D3D84008 18000104
	v_accvgpr_read_b32 v9, a5                                  // 000000004434: D3D84009 18000105
	v_accvgpr_read_b32 v10, a6                                 // 00000000443C: D3D8400A 18000106
	v_accvgpr_read_b32 v11, a7                                 // 000000004444: D3D8400B 18000107
	v_accvgpr_read_b32 v12, a12                                // 00000000444C: D3D8400C 1800010C
	v_accvgpr_read_b32 v13, a13                                // 000000004454: D3D8400D 1800010D
	v_accvgpr_read_b32 v14, a14                                // 00000000445C: D3D8400E 1800010E
	v_accvgpr_read_b32 v15, a15                                // 000000004464: D3D8400F 1800010F
	v_cvt_pk_bf16_f32 v16, v8, v9                              // 00000000446C: D2680010 00021308
	v_cvt_pk_bf16_f32 v17, v10, v11                            // 000000004474: D2680011 0002170A
	v_cvt_pk_bf16_f32 v18, v12, v13                            // 00000000447C: D2680012 00021B0C
	v_cvt_pk_bf16_f32 v19, v14, v15                            // 000000004484: D2680013 00021F0E
	s_nop 1                                                    // 00000000448C: BF800001
	v_permlane16_swap_b32_e32 v16, v18                         // 000000004490: 7E20B312
	s_nop 1                                                    // 000000004494: BF800001
	v_permlane16_swap_b32_e32 v17, v19                         // 000000004498: 7E22B313
	s_nop 1                                                    // 00000000449C: BF800001
	buffer_store_dwordx4 v[16:19], v161, s[4:7], 0 offen       // 0000000044A0: E07C1000 800110A1
	v_add_u32_e32 v161, s62, v161                              // 0000000044A8: 6943423E
	v_add_u32_e32 v161, 64, v157                               // 0000000044AC: 69433AC0
	v_accvgpr_read_b32 v8, a16                                 // 0000000044B0: D3D84008 18000110
	v_accvgpr_read_b32 v9, a17                                 // 0000000044B8: D3D84009 18000111
	v_accvgpr_read_b32 v10, a18                                // 0000000044C0: D3D8400A 18000112
	v_accvgpr_read_b32 v11, a19                                // 0000000044C8: D3D8400B 18000113
	v_accvgpr_read_b32 v12, a24                                // 0000000044D0: D3D8400C 18000118
	v_accvgpr_read_b32 v13, a25                                // 0000000044D8: D3D8400D 18000119
	v_accvgpr_read_b32 v14, a26                                // 0000000044E0: D3D8400E 1800011A
	v_accvgpr_read_b32 v15, a27                                // 0000000044E8: D3D8400F 1800011B
	v_cvt_pk_bf16_f32 v16, v8, v9                              // 0000000044F0: D2680010 00021308
	v_cvt_pk_bf16_f32 v17, v10, v11                            // 0000000044F8: D2680011 0002170A
	v_cvt_pk_bf16_f32 v18, v12, v13                            // 000000004500: D2680012 00021B0C
	v_cvt_pk_bf16_f32 v19, v14, v15                            // 000000004508: D2680013 00021F0E
	s_nop 1                                                    // 000000004510: BF800001
	v_permlane16_swap_b32_e32 v16, v18                         // 000000004514: 7E20B312
	s_nop 1                                                    // 000000004518: BF800001
	v_permlane16_swap_b32_e32 v17, v19                         // 00000000451C: 7E22B313
	s_nop 1                                                    // 000000004520: BF800001
	buffer_store_dwordx4 v[16:19], v161, s[4:7], 0 offen       // 000000004524: E07C1000 800110A1
	v_add_u32_e32 v161, s62, v161                              // 00000000452C: 6943423E
	v_accvgpr_read_b32 v8, a20                                 // 000000004530: D3D84008 18000114
	v_accvgpr_read_b32 v9, a21                                 // 000000004538: D3D84009 18000115
	v_accvgpr_read_b32 v10, a22                                // 000000004540: D3D8400A 18000116
	v_accvgpr_read_b32 v11, a23                                // 000000004548: D3D8400B 18000117
	v_accvgpr_read_b32 v12, a28                                // 000000004550: D3D8400C 1800011C
	v_accvgpr_read_b32 v13, a29                                // 000000004558: D3D8400D 1800011D
	v_accvgpr_read_b32 v14, a30                                // 000000004560: D3D8400E 1800011E
	v_accvgpr_read_b32 v15, a31                                // 000000004568: D3D8400F 1800011F
	v_cvt_pk_bf16_f32 v16, v8, v9                              // 000000004570: D2680010 00021308
	v_cvt_pk_bf16_f32 v17, v10, v11                            // 000000004578: D2680011 0002170A
	v_cvt_pk_bf16_f32 v18, v12, v13                            // 000000004580: D2680012 00021B0C
	v_cvt_pk_bf16_f32 v19, v14, v15                            // 000000004588: D2680013 00021F0E
	s_nop 1                                                    // 000000004590: BF800001
	v_permlane16_swap_b32_e32 v16, v18                         // 000000004594: 7E20B312
	s_nop 1                                                    // 000000004598: BF800001
	v_permlane16_swap_b32_e32 v17, v19                         // 00000000459C: 7E22B313
	s_nop 1                                                    // 0000000045A0: BF800001
	buffer_store_dwordx4 v[16:19], v161, s[4:7], 0 offen       // 0000000045A4: E07C1000 800110A1
	v_add_u32_e32 v161, s62, v161                              // 0000000045AC: 6943423E
	s_branch label_06F6                                        // 0000000045B0: BF820089

00000000000045b4 <label_066D>:
	s_mul_i32 s62, s36, 16                                     // 0000000045B4: 923E9024
	s_cmp_lt_i32 s60, s44                                      // 0000000045B8: BF042C3C
	s_cbranch_scc0 label_06F6                                  // 0000000045BC: BF840086
	s_addk_i32 s60, 0x20                                       // 0000000045C0: B73C0020
	v_add_u32_e32 v161, 0, v157                                // 0000000045C4: 69433A80
	v_accvgpr_read_b32 v8, a0                                  // 0000000045C8: D3D84008 18000100
	v_accvgpr_read_b32 v9, a1                                  // 0000000045D0: D3D84009 18000101
	v_accvgpr_read_b32 v10, a2                                 // 0000000045D8: D3D8400A 18000102
	v_accvgpr_read_b32 v11, a3                                 // 0000000045E0: D3D8400B 18000103
	v_accvgpr_read_b32 v12, a8                                 // 0000000045E8: D3D8400C 18000108
	v_accvgpr_read_b32 v13, a9                                 // 0000000045F0: D3D8400D 18000109
	v_accvgpr_read_b32 v14, a10                                // 0000000045F8: D3D8400E 1800010A
	v_accvgpr_read_b32 v15, a11                                // 000000004600: D3D8400F 1800010B
	v_cvt_pk_bf16_f32 v16, v8, v9                              // 000000004608: D2680010 00021308
	v_cvt_pk_bf16_f32 v17, v10, v11                            // 000000004610: D2680011 0002170A
	v_cvt_pk_bf16_f32 v18, v12, v13                            // 000000004618: D2680012 00021B0C
	v_cvt_pk_bf16_f32 v19, v14, v15                            // 000000004620: D2680013 00021F0E
	s_nop 1                                                    // 000000004628: BF800001
	v_permlane16_swap_b32_e32 v16, v18                         // 00000000462C: 7E20B312
	s_nop 1                                                    // 000000004630: BF800001
	v_permlane16_swap_b32_e32 v17, v19                         // 000000004634: 7E22B313
	s_nop 1                                                    // 000000004638: BF800001
	buffer_store_dwordx4 v[16:19], v161, s[4:7], 0 offen       // 00000000463C: E07C1000 800110A1
	v_add_u32_e32 v161, s62, v161                              // 000000004644: 6943423E
	v_accvgpr_read_b32 v8, a4                                  // 000000004648: D3D84008 18000104
	v_accvgpr_read_b32 v9, a5                                  // 000000004650: D3D84009 18000105
	v_accvgpr_read_b32 v10, a6                                 // 000000004658: D3D8400A 18000106
	v_accvgpr_read_b32 v11, a7                                 // 000000004660: D3D8400B 18000107
	v_accvgpr_read_b32 v12, a12                                // 000000004668: D3D8400C 1800010C
	v_accvgpr_read_b32 v13, a13                                // 000000004670: D3D8400D 1800010D
	v_accvgpr_read_b32 v14, a14                                // 000000004678: D3D8400E 1800010E
	v_accvgpr_read_b32 v15, a15                                // 000000004680: D3D8400F 1800010F
	v_cvt_pk_bf16_f32 v16, v8, v9                              // 000000004688: D2680010 00021308
	v_cvt_pk_bf16_f32 v17, v10, v11                            // 000000004690: D2680011 0002170A
	v_cvt_pk_bf16_f32 v18, v12, v13                            // 000000004698: D2680012 00021B0C
	v_cvt_pk_bf16_f32 v19, v14, v15                            // 0000000046A0: D2680013 00021F0E
	s_nop 1                                                    // 0000000046A8: BF800001
	v_permlane16_swap_b32_e32 v16, v18                         // 0000000046AC: 7E20B312
	s_nop 1                                                    // 0000000046B0: BF800001
	v_permlane16_swap_b32_e32 v17, v19                         // 0000000046B4: 7E22B313
	s_nop 1                                                    // 0000000046B8: BF800001
	buffer_store_dwordx4 v[16:19], v161, s[4:7], 0 offen       // 0000000046BC: E07C1000 800110A1
	v_add_u32_e32 v161, s62, v161                              // 0000000046C4: 6943423E
	s_cmp_lt_i32 s60, s44                                      // 0000000046C8: BF042C3C
	s_cbranch_scc0 label_06F6                                  // 0000000046CC: BF840042
	s_addk_i32 s60, 0x20                                       // 0000000046D0: B73C0020
	v_add_u32_e32 v161, 64, v157                               // 0000000046D4: 69433AC0
	v_accvgpr_read_b32 v8, a16                                 // 0000000046D8: D3D84008 18000110
	v_accvgpr_read_b32 v9, a17                                 // 0000000046E0: D3D84009 18000111
	v_accvgpr_read_b32 v10, a18                                // 0000000046E8: D3D8400A 18000112
	v_accvgpr_read_b32 v11, a19                                // 0000000046F0: D3D8400B 18000113
	v_accvgpr_read_b32 v12, a24                                // 0000000046F8: D3D8400C 18000118
	v_accvgpr_read_b32 v13, a25                                // 000000004700: D3D8400D 18000119
	v_accvgpr_read_b32 v14, a26                                // 000000004708: D3D8400E 1800011A
	v_accvgpr_read_b32 v15, a27                                // 000000004710: D3D8400F 1800011B
	v_cvt_pk_bf16_f32 v16, v8, v9                              // 000000004718: D2680010 00021308
	v_cvt_pk_bf16_f32 v17, v10, v11                            // 000000004720: D2680011 0002170A
	v_cvt_pk_bf16_f32 v18, v12, v13                            // 000000004728: D2680012 00021B0C
	v_cvt_pk_bf16_f32 v19, v14, v15                            // 000000004730: D2680013 00021F0E
	s_nop 1                                                    // 000000004738: BF800001
	v_permlane16_swap_b32_e32 v16, v18                         // 00000000473C: 7E20B312
	s_nop 1                                                    // 000000004740: BF800001
	v_permlane16_swap_b32_e32 v17, v19                         // 000000004744: 7E22B313
	s_nop 1                                                    // 000000004748: BF800001
	buffer_store_dwordx4 v[16:19], v161, s[4:7], 0 offen       // 00000000474C: E07C1000 800110A1
	v_add_u32_e32 v161, s62, v161                              // 000000004754: 6943423E
	v_accvgpr_read_b32 v8, a20                                 // 000000004758: D3D84008 18000114
	v_accvgpr_read_b32 v9, a21                                 // 000000004760: D3D84009 18000115
	v_accvgpr_read_b32 v10, a22                                // 000000004768: D3D8400A 18000116
	v_accvgpr_read_b32 v11, a23                                // 000000004770: D3D8400B 18000117
	v_accvgpr_read_b32 v12, a28                                // 000000004778: D3D8400C 1800011C
	v_accvgpr_read_b32 v13, a29                                // 000000004780: D3D8400D 1800011D
	v_accvgpr_read_b32 v14, a30                                // 000000004788: D3D8400E 1800011E
	v_accvgpr_read_b32 v15, a31                                // 000000004790: D3D8400F 1800011F
	v_cvt_pk_bf16_f32 v16, v8, v9                              // 000000004798: D2680010 00021308
	v_cvt_pk_bf16_f32 v17, v10, v11                            // 0000000047A0: D2680011 0002170A
	v_cvt_pk_bf16_f32 v18, v12, v13                            // 0000000047A8: D2680012 00021B0C
	v_cvt_pk_bf16_f32 v19, v14, v15                            // 0000000047B0: D2680013 00021F0E
	s_nop 1                                                    // 0000000047B8: BF800001
	v_permlane16_swap_b32_e32 v16, v18                         // 0000000047BC: 7E20B312
	s_nop 1                                                    // 0000000047C0: BF800001
	v_permlane16_swap_b32_e32 v17, v19                         // 0000000047C4: 7E22B313
	s_nop 1                                                    // 0000000047C8: BF800001
	buffer_store_dwordx4 v[16:19], v161, s[4:7], 0 offen       // 0000000047CC: E07C1000 800110A1
	v_add_u32_e32 v161, s62, v161                              // 0000000047D4: 6943423E

00000000000047d8 <label_06F6>:
	s_waitcnt vmcnt(0) expcnt(0) lgkmcnt(0)                    // 0000000047D8: BF8C0000
	s_endpgm                                                   // 0000000047DC: BF810000
